;; amdgpu-corpus repo=ROCm/rocFFT kind=compiled arch=gfx1201 opt=O3
	.text
	.amdgcn_target "amdgcn-amd-amdhsa--gfx1201"
	.amdhsa_code_object_version 6
	.protected	bluestein_single_back_len68_dim1_dp_op_CI_CI ; -- Begin function bluestein_single_back_len68_dim1_dp_op_CI_CI
	.globl	bluestein_single_back_len68_dim1_dp_op_CI_CI
	.p2align	8
	.type	bluestein_single_back_len68_dim1_dp_op_CI_CI,@function
bluestein_single_back_len68_dim1_dp_op_CI_CI: ; @bluestein_single_back_len68_dim1_dp_op_CI_CI
; %bb.0:
	s_load_b128 s[8:11], s[0:1], 0x28
	v_mul_u32_u24_e32 v1, 0xf10, v0
	s_mov_b32 s2, exec_lo
	s_delay_alu instid0(VALU_DEP_1) | instskip(NEXT) | instid1(VALU_DEP_1)
	v_lshrrev_b32_e32 v1, 16, v1
	v_mad_co_u64_u32 v[3:4], null, ttmp9, 15, v[1:2]
	v_mov_b32_e32 v4, 0
	s_wait_kmcnt 0x0
	s_delay_alu instid0(VALU_DEP_1)
	v_cmpx_gt_u64_e64 s[8:9], v[3:4]
	s_cbranch_execz .LBB0_15
; %bb.1:
	v_mul_hi_u32 v2, 0x88888889, v3
	v_mul_lo_u16 v1, v1, 17
	s_clause 0x1
	s_load_b64 s[8:9], s[0:1], 0x0
	s_load_b64 s[12:13], s[0:1], 0x38
	s_delay_alu instid0(VALU_DEP_1) | instskip(NEXT) | instid1(VALU_DEP_3)
	v_sub_nc_u16 v0, v0, v1
	v_lshrrev_b32_e32 v2, 3, v2
	s_delay_alu instid0(VALU_DEP_2) | instskip(SKIP_1) | instid1(VALU_DEP_3)
	v_and_b32_e32 v120, 0xffff, v0
	v_cmp_gt_u16_e32 vcc_lo, 4, v0
	v_mul_lo_u32 v1, v2, 15
	s_delay_alu instid0(VALU_DEP_3) | instskip(SKIP_4) | instid1(VALU_DEP_2)
	v_dual_mov_b32 v0, v3 :: v_dual_lshlrev_b32 v149, 4, v120
	v_or_b32_e32 v255, 52, v120
	scratch_store_b64 off, v[0:1], off offset:4 ; 8-byte Folded Spill
	v_sub_nc_u32_e32 v0, v3, v1
	v_or_b32_e32 v1, 4, v120
	v_mul_u32_u24_e32 v150, 0x44, v0
	scratch_store_b32 off, v1, off offset:60 ; 4-byte Folded Spill
	v_or_b32_e32 v1, 8, v120
	v_or_b32_e32 v0, 20, v120
	scratch_store_b32 off, v1, off offset:56 ; 4-byte Folded Spill
	v_or_b32_e32 v1, 12, v120
	scratch_store_b32 off, v0, off offset:44 ; 4-byte Folded Spill
	;; [unrolled: 2-line block ×10, first 2 shown]
	v_or_b32_e32 v1, 48, v120
	v_lshlrev_b32_e32 v0, 4, v0
	s_clause 0x1
	scratch_store_b32 off, v1, off offset:16
	scratch_store_b32 off, v0, off
	s_and_saveexec_b32 s3, vcc_lo
	s_cbranch_execz .LBB0_3
; %bb.2:
	s_load_b64 s[4:5], s[0:1], 0x18
	v_or_b32_e32 v42, 24, v120
	v_or_b32_e32 v35, 4, v120
	;; [unrolled: 1-line block ×13, first 2 shown]
	s_wait_kmcnt 0x0
	s_load_b128 s[4:7], s[4:5], 0x0
	s_clause 0x3
	global_load_b128 v[0:3], v149, s[8:9]
	global_load_b128 v[4:7], v149, s[8:9] offset:64
	global_load_b128 v[8:11], v149, s[8:9] offset:128
	;; [unrolled: 1-line block ×3, first 2 shown]
	scratch_load_b64 v[16:17], off, off offset:4 ; 8-byte Folded Reload
	s_wait_kmcnt 0x0
	v_mad_co_u64_u32 v[40:41], null, s4, v42, 0
	v_mad_co_u64_u32 v[18:19], null, s4, v120, 0
	;; [unrolled: 1-line block ×15, first 2 shown]
	s_wait_loadcnt 0x0
	v_dual_mov_b32 v29, v41 :: v_dual_mov_b32 v30, v16
	s_delay_alu instid0(VALU_DEP_1) | instskip(NEXT) | instid1(VALU_DEP_1)
	v_mad_co_u64_u32 v[16:17], null, s6, v30, 0
	v_mad_co_u64_u32 v[30:31], null, s7, v30, v[17:18]
	v_mov_b32_e32 v28, v33
	v_mad_co_u64_u32 v[33:34], null, s5, v120, v[19:20]
	v_mad_co_u64_u32 v[34:35], null, s5, v35, v[21:22]
	;; [unrolled: 1-line block ×3, first 2 shown]
	v_mov_b32_e32 v17, v30
	v_mad_co_u64_u32 v[36:37], null, s5, v37, v[25:26]
	v_mov_b32_e32 v19, v33
	v_mov_b32_e32 v21, v34
	s_delay_alu instid0(VALU_DEP_4)
	v_lshlrev_b64_e32 v[16:17], 4, v[16:17]
	v_mad_co_u64_u32 v[37:38], null, s5, v38, v[27:28]
	v_mov_b32_e32 v23, v35
	v_dual_mov_b32 v25, v36 :: v_dual_mov_b32 v36, v51
	v_lshlrev_b64_e32 v[18:19], 4, v[18:19]
	v_add_co_u32 v48, s2, s10, v16
	v_mad_co_u64_u32 v[38:39], null, s5, v39, v[28:29]
	v_lshlrev_b64_e32 v[20:21], 4, v[20:21]
	v_add_co_ci_u32_e64 v49, s2, s11, v17, s2
	v_lshlrev_b64_e32 v[22:23], 4, v[22:23]
	v_add_co_u32 v18, s2, v48, v18
	v_mov_b32_e32 v27, v37
	s_wait_alu 0xf1ff
	v_add_co_ci_u32_e64 v19, s2, v49, v19, s2
	v_lshlrev_b64_e32 v[16:17], 4, v[24:25]
	v_add_co_u32 v20, s2, v48, v20
	v_mov_b32_e32 v33, v38
	s_wait_alu 0xf1ff
	v_add_co_ci_u32_e64 v21, s2, v49, v21, s2
	v_add_co_u32 v22, s2, v48, v22
	v_lshlrev_b64_e32 v[34:35], 4, v[26:27]
	s_wait_alu 0xf1ff
	v_add_co_ci_u32_e64 v23, s2, v49, v23, s2
	v_add_co_u32 v16, s2, v48, v16
	v_lshlrev_b64_e32 v[32:33], 4, v[32:33]
	v_mad_co_u64_u32 v[41:42], null, s5, v42, v[29:30]
	s_wait_alu 0xf1ff
	v_add_co_ci_u32_e64 v17, s2, v49, v17, s2
	v_add_co_u32 v42, s2, v48, v34
	v_mad_co_u64_u32 v[44:45], null, s5, v44, v[36:37]
	s_wait_alu 0xf1ff
	v_add_co_ci_u32_e64 v43, s2, v49, v35, s2
	v_add_co_u32 v52, s2, v48, v32
	s_wait_alu 0xf1ff
	v_add_co_ci_u32_e64 v53, s2, v49, v33, s2
	s_clause 0x3
	global_load_b128 v[28:31], v[18:19], off
	global_load_b128 v[24:27], v[20:21], off
	;; [unrolled: 1-line block ×4, first 2 shown]
	s_clause 0x1
	global_load_b128 v[36:39], v149, s[8:9] offset:256
	global_load_b128 v[32:35], v149, s[8:9] offset:320
	v_lshlrev_b64_e32 v[54:55], 4, v[40:41]
	v_mov_b32_e32 v51, v44
	s_clause 0x1
	global_load_b128 v[44:47], v[42:43], off
	global_load_b128 v[40:43], v[52:53], off
	v_or_b32_e32 v53, 32, v120
	v_lshlrev_b64_e32 v[50:51], 4, v[50:51]
	v_add_co_u32 v58, s2, v48, v54
	s_delay_alu instid0(VALU_DEP_3) | instskip(SKIP_2) | instid1(VALU_DEP_4)
	v_mad_co_u64_u32 v[66:67], null, s4, v53, 0
	s_wait_alu 0xf1ff
	v_add_co_ci_u32_e64 v59, s2, v49, v55, s2
	v_add_co_u32 v62, s2, v48, v50
	s_wait_alu 0xf1ff
	v_add_co_ci_u32_e64 v63, s2, v49, v51, s2
	s_delay_alu instid0(VALU_DEP_4) | instskip(NEXT) | instid1(VALU_DEP_1)
	v_mov_b32_e32 v52, v67
	v_mad_co_u64_u32 v[60:61], null, s5, v53, v[52:53]
	v_mov_b32_e32 v61, v69
	s_clause 0x1
	global_load_b128 v[50:53], v149, s[8:9] offset:384
	global_load_b128 v[54:57], v149, s[8:9] offset:448
	v_mad_co_u64_u32 v[69:70], null, s5, v64, v[61:62]
	v_dual_mov_b32 v67, v60 :: v_dual_mov_b32 v70, v75
	s_clause 0x1
	global_load_b128 v[58:61], v[58:59], off
	global_load_b128 v[62:65], v[62:63], off
	v_lshlrev_b64_e32 v[66:67], 4, v[66:67]
	v_mad_co_u64_u32 v[75:76], null, s5, v72, v[70:71]
	v_mov_b32_e32 v70, v83
	v_lshlrev_b64_e32 v[78:79], 4, v[68:69]
	s_delay_alu instid0(VALU_DEP_4) | instskip(NEXT) | instid1(VALU_DEP_3)
	v_add_co_u32 v76, s2, v48, v66
	v_mad_co_u64_u32 v[80:81], null, s5, v71, v[70:71]
	s_wait_alu 0xf1ff
	v_add_co_ci_u32_e64 v77, s2, v49, v67, s2
	s_delay_alu instid0(VALU_DEP_4)
	v_add_co_u32 v78, s2, v48, v78
	s_wait_alu 0xf1ff
	v_add_co_ci_u32_e64 v79, s2, v49, v79, s2
	s_clause 0x1
	global_load_b128 v[66:69], v149, s[8:9] offset:512
	global_load_b128 v[70:73], v149, s[8:9] offset:576
	v_lshlrev_b64_e32 v[84:85], 4, v[74:75]
	v_mov_b32_e32 v83, v80
	s_clause 0x1
	global_load_b128 v[74:77], v[76:77], off
	global_load_b128 v[78:81], v[78:79], off
	v_add_co_u32 v90, s2, v48, v84
	v_mov_b32_e32 v84, v99
	v_lshlrev_b64_e32 v[82:83], 4, v[82:83]
	s_wait_alu 0xf1ff
	v_add_co_ci_u32_e64 v91, s2, v49, v85, s2
	s_delay_alu instid0(VALU_DEP_3) | instskip(NEXT) | instid1(VALU_DEP_3)
	v_mad_co_u64_u32 v[92:93], null, s5, v86, v[84:85]
	v_add_co_u32 v94, s2, v48, v82
	v_mov_b32_e32 v93, v101
	s_wait_alu 0xf1ff
	v_add_co_ci_u32_e64 v95, s2, v49, v83, s2
	s_clause 0x1
	global_load_b128 v[82:85], v149, s[8:9] offset:640
	global_load_b128 v[86:89], v149, s[8:9] offset:704
	v_mov_b32_e32 v99, v92
	v_mad_co_u64_u32 v[104:105], null, s5, v255, v[93:94]
	v_or_b32_e32 v105, 64, v120
	s_clause 0x1
	global_load_b128 v[90:93], v[90:91], off
	global_load_b128 v[94:97], v[94:95], off
	v_lshlrev_b64_e32 v[98:99], 4, v[98:99]
	v_mad_co_u64_u32 v[118:119], null, s4, v105, 0
	v_mov_b32_e32 v101, v104
	v_mad_co_u64_u32 v[103:104], null, s5, v108, v[103:104]
	v_mov_b32_e32 v104, v107
	v_add_co_u32 v108, s2, v48, v98
	s_wait_alu 0xf1ff
	v_add_co_ci_u32_e64 v109, s2, v49, v99, s2
	v_lshlrev_b64_e32 v[98:99], 4, v[100:101]
	v_mov_b32_e32 v100, v119
	v_mad_co_u64_u32 v[110:111], null, s5, v110, v[104:105]
	v_lshlrev_b64_e32 v[113:114], 4, v[102:103]
	s_delay_alu instid0(VALU_DEP_3) | instskip(SKIP_1) | instid1(VALU_DEP_4)
	v_mad_co_u64_u32 v[115:116], null, s5, v105, v[100:101]
	v_add_co_u32 v111, s2, v48, v98
	v_mov_b32_e32 v107, v110
	s_wait_alu 0xf1ff
	v_add_co_ci_u32_e64 v112, s2, v49, v99, s2
	v_add_co_u32 v116, s2, v48, v113
	v_mov_b32_e32 v119, v115
	v_lshlrev_b64_e32 v[121:122], 4, v[106:107]
	s_wait_alu 0xf1ff
	v_add_co_ci_u32_e64 v117, s2, v49, v114, s2
	s_clause 0x1
	global_load_b128 v[98:101], v149, s[8:9] offset:768
	global_load_b128 v[102:105], v149, s[8:9] offset:832
	v_lshlrev_b64_e32 v[118:119], 4, v[118:119]
	s_clause 0x2
	global_load_b128 v[106:109], v[108:109], off
	global_load_b128 v[110:113], v[111:112], off
	;; [unrolled: 1-line block ×3, first 2 shown]
	v_add_co_u32 v129, s2, v48, v121
	s_wait_alu 0xf1ff
	v_add_co_ci_u32_e64 v130, s2, v49, v122, s2
	v_add_co_u32 v48, s2, v48, v118
	s_wait_alu 0xf1ff
	v_add_co_ci_u32_e64 v49, s2, v49, v119, s2
	s_clause 0x1
	global_load_b128 v[121:124], v149, s[8:9] offset:896
	global_load_b128 v[125:128], v149, s[8:9] offset:960
	global_load_b128 v[129:132], v[129:130], off
	global_load_b128 v[133:136], v149, s[8:9] offset:1024
	global_load_b128 v[137:140], v[48:49], off
	s_wait_loadcnt 0x1d
	v_mul_f64_e32 v[48:49], v[30:31], v[2:3]
	v_mul_f64_e32 v[2:3], v[28:29], v[2:3]
	s_wait_loadcnt 0x1c
	v_mul_f64_e32 v[118:119], v[26:27], v[6:7]
	v_mul_f64_e32 v[6:7], v[24:25], v[6:7]
	;; [unrolled: 3-line block ×5, first 2 shown]
	v_mul_f64_e32 v[145:146], v[46:47], v[38:39]
	v_mul_f64_e32 v[38:39], v[44:45], v[38:39]
	s_wait_loadcnt 0x13
	v_mul_f64_e32 v[151:152], v[60:61], v[52:53]
	v_mul_f64_e32 v[52:53], v[58:59], v[52:53]
	v_fma_f64 v[30:31], v[30:31], v[0:1], -v[2:3]
	s_wait_loadcnt 0x12
	v_mul_f64_e32 v[153:154], v[64:65], v[56:57]
	v_fma_f64 v[2:3], v[26:27], v[4:5], -v[6:7]
	v_mul_f64_e32 v[56:57], v[62:63], v[56:57]
	v_fma_f64 v[6:7], v[22:23], v[8:9], -v[10:11]
	v_fma_f64 v[28:29], v[28:29], v[0:1], v[48:49]
	v_fma_f64 v[10:11], v[18:19], v[12:13], -v[14:15]
	v_fma_f64 v[0:1], v[24:25], v[4:5], v[118:119]
	;; [unrolled: 2-line block ×3, first 2 shown]
	v_fma_f64 v[8:9], v[16:17], v[12:13], v[143:144]
	v_fma_f64 v[12:13], v[44:45], v[36:37], v[145:146]
	v_fma_f64 v[14:15], v[46:47], v[36:37], -v[38:39]
	v_fma_f64 v[16:17], v[40:41], v[32:33], v[147:148]
	s_wait_loadcnt 0xf
	v_mul_f64_e32 v[155:156], v[76:77], v[68:69]
	v_mul_f64_e32 v[68:69], v[74:75], v[68:69]
	s_wait_loadcnt 0xe
	v_mul_f64_e32 v[157:158], v[80:81], v[72:73]
	v_mul_f64_e32 v[72:73], v[78:79], v[72:73]
	v_fma_f64 v[20:21], v[58:59], v[50:51], v[151:152]
	v_fma_f64 v[22:23], v[60:61], v[50:51], -v[52:53]
	v_fma_f64 v[24:25], v[62:63], v[54:55], v[153:154]
	v_fma_f64 v[26:27], v[64:65], v[54:55], -v[56:57]
	s_wait_loadcnt 0xb
	v_mul_f64_e32 v[159:160], v[92:93], v[84:85]
	v_mul_f64_e32 v[84:85], v[90:91], v[84:85]
	s_wait_loadcnt 0xa
	v_mul_f64_e32 v[161:162], v[96:97], v[88:89]
	v_mul_f64_e32 v[88:89], v[94:95], v[88:89]
	v_fma_f64 v[32:33], v[74:75], v[66:67], v[155:156]
	v_fma_f64 v[34:35], v[76:77], v[66:67], -v[68:69]
	scratch_load_b32 v69, off, off          ; 4-byte Folded Reload
	v_fma_f64 v[36:37], v[78:79], v[70:71], v[157:158]
	v_fma_f64 v[38:39], v[80:81], v[70:71], -v[72:73]
	v_lshl_add_u32 v68, v150, 4, v149
	s_wait_loadcnt 0x8
	v_mul_f64_e32 v[163:164], v[108:109], v[100:101]
	v_mul_f64_e32 v[100:101], v[106:107], v[100:101]
	s_wait_loadcnt 0x7
	v_mul_f64_e32 v[165:166], v[112:113], v[104:105]
	v_mul_f64_e32 v[104:105], v[110:111], v[104:105]
	v_fma_f64 v[40:41], v[90:91], v[82:83], v[159:160]
	v_fma_f64 v[42:43], v[92:93], v[82:83], -v[84:85]
	v_fma_f64 v[44:45], v[94:95], v[86:87], v[161:162]
	s_wait_loadcnt 0x5
	v_mul_f64_e32 v[167:168], v[116:117], v[123:124]
	v_mul_f64_e32 v[123:124], v[114:115], v[123:124]
	s_wait_loadcnt 0x3
	v_mul_f64_e32 v[169:170], v[131:132], v[127:128]
	v_mul_f64_e32 v[127:128], v[129:130], v[127:128]
	;; [unrolled: 3-line block ×3, first 2 shown]
	v_fma_f64 v[46:47], v[96:97], v[86:87], -v[88:89]
	v_fma_f64 v[48:49], v[106:107], v[98:99], v[163:164]
	v_fma_f64 v[50:51], v[108:109], v[98:99], -v[100:101]
	v_fma_f64 v[52:53], v[110:111], v[102:103], v[165:166]
	v_fma_f64 v[54:55], v[112:113], v[102:103], -v[104:105]
	v_fma_f64 v[56:57], v[114:115], v[121:122], v[167:168]
	v_fma_f64 v[58:59], v[116:117], v[121:122], -v[123:124]
	v_fma_f64 v[60:61], v[129:130], v[125:126], v[169:170]
	v_fma_f64 v[62:63], v[131:132], v[125:126], -v[127:128]
	v_fma_f64 v[64:65], v[137:138], v[133:134], v[171:172]
	v_fma_f64 v[66:67], v[139:140], v[133:134], -v[135:136]
	s_wait_loadcnt 0x0
	ds_store_b128 v69, v[28:31]
	ds_store_b128 v68, v[0:3] offset:64
	ds_store_b128 v68, v[4:7] offset:128
	;; [unrolled: 1-line block ×16, first 2 shown]
.LBB0_3:
	s_or_b32 exec_lo, exec_lo, s3
	s_load_b64 s[2:3], s[0:1], 0x20
	v_lshlrev_b32_e32 v0, 4, v150
                                        ; implicit-def: $vgpr22_vgpr23
                                        ; implicit-def: $vgpr74_vgpr75
                                        ; implicit-def: $vgpr86_vgpr87
                                        ; implicit-def: $vgpr102_vgpr103
                                        ; implicit-def: $vgpr110_vgpr111
                                        ; implicit-def: $vgpr118_vgpr119
                                        ; implicit-def: $vgpr114_vgpr115
                                        ; implicit-def: $vgpr106_vgpr107
                                        ; implicit-def: $vgpr98_vgpr99
                                        ; implicit-def: $vgpr90_vgpr91
                                        ; implicit-def: $vgpr18_vgpr19
                                        ; implicit-def: $vgpr76_vgpr77
                                        ; implicit-def: $vgpr64_vgpr65
                                        ; implicit-def: $vgpr24_vgpr25
                                        ; implicit-def: $vgpr68_vgpr69
                                        ; implicit-def: $vgpr92_vgpr93
                                        ; implicit-def: $vgpr80_vgpr81
	scratch_store_b32 off, v0, off offset:12 ; 4-byte Folded Spill
	global_wb scope:SCOPE_SE
	s_wait_storecnt_dscnt 0x0
	s_wait_kmcnt 0x0
	s_barrier_signal -1
	s_barrier_wait -1
	global_inv scope:SCOPE_SE
	s_and_saveexec_b32 s4, vcc_lo
	s_cbranch_execz .LBB0_5
; %bb.4:
	scratch_load_b32 v1, off, off           ; 4-byte Folded Reload
	v_lshlrev_b32_e32 v0, 4, v150
	s_delay_alu instid0(VALU_DEP_1)
	v_lshl_add_u32 v0, v120, 4, v0
	s_wait_loadcnt 0x0
	ds_load_b128 v[16:19], v1
	ds_load_b128 v[80:83], v0 offset:64
	ds_load_b128 v[92:95], v0 offset:128
	;; [unrolled: 1-line block ×16, first 2 shown]
.LBB0_5:
	s_wait_alu 0xfffe
	s_or_b32 exec_lo, exec_lo, s4
	s_wait_dscnt 0x0
	v_add_f64_e64 v[56:57], v[82:83], -v[70:71]
	v_add_f64_e64 v[58:59], v[94:95], -v[26:27]
	s_mov_b32 s4, 0x5d8e7cdc
	s_mov_b32 s48, 0x2a9d6da3
	s_mov_b32 s5, 0xbfd71e95
	s_mov_b32 s49, 0xbfe58eea
	v_add_f64_e32 v[131:132], v[68:69], v[80:81]
	v_add_f64_e64 v[62:63], v[92:93], -v[24:25]
	s_mov_b32 s10, 0x370991
	s_mov_b32 s18, 0xeb564b22
	s_mov_b32 s11, 0x3fedd6d0
	s_mov_b32 s19, 0xbfefdd0d
	v_add_f64_e32 v[123:124], v[24:25], v[92:93]
	s_mov_b32 s6, 0x75d4884
	s_mov_b32 s7, 0x3fe7a5f6
	v_add_f64_e64 v[60:61], v[80:81], -v[68:69]
	v_add_f64_e32 v[143:144], v[70:71], v[82:83]
	v_add_f64_e32 v[127:128], v[26:27], v[94:95]
	v_add_f64_e64 v[217:218], v[90:91], -v[66:67]
	s_mov_b32 s38, 0x7c9e640b
	s_mov_b32 s39, 0xbfeca52d
	v_add_f64_e32 v[135:136], v[88:89], v[64:65]
	s_mov_b32 s14, 0x2b2883cd
	s_mov_b32 s15, 0x3fdc86fa
	v_add_f64_e64 v[219:220], v[88:89], -v[64:65]
	v_add_f64_e32 v[139:140], v[90:91], v[66:67]
	v_add_f64_e64 v[253:254], v[98:99], -v[78:79]
	v_add_f64_e32 v[147:148], v[96:97], v[76:77]
	s_mov_b32 s16, 0x3259b75e
	s_mov_b32 s17, 0x3fb79ee6
	v_add_f64_e64 v[121:122], v[96:97], -v[76:77]
	v_add_f64_e32 v[151:152], v[98:99], v[78:79]
	v_add_f64_e32 v[125:126], v[20:21], v[104:105]
	s_mov_b32 s22, 0xc61f0d01
	s_mov_b32 s23, 0xbfd183b1
	v_add_f64_e64 v[155:156], v[106:107], -v[22:23]
	s_mov_b32 s20, 0x923c349f
	s_mov_b32 s21, 0xbfeec746
	s_wait_alu 0xfffe
	v_mul_f64_e32 v[0:1], s[4:5], v[56:57]
	v_mul_f64_e32 v[2:3], s[48:49], v[58:59]
	;; [unrolled: 1-line block ×3, first 2 shown]
	v_add_f64_e64 v[129:130], v[104:105], -v[20:21]
	v_add_f64_e32 v[159:160], v[22:23], v[106:107]
	v_add_f64_e32 v[133:134], v[72:73], v[112:113]
	s_mov_b32 s26, 0x6ed5f1bb
	v_mul_f64_e32 v[4:5], s[48:49], v[62:63]
	v_mul_f64_e32 v[8:9], s[18:19], v[62:63]
	s_mov_b32 s27, 0xbfe348c8
	v_add_f64_e64 v[163:164], v[114:115], -v[74:75]
	s_mov_b32 s24, 0x6c9a05f6
	s_mov_b32 s25, 0xbfe9895b
	v_add_f64_e64 v[137:138], v[112:113], -v[72:73]
	v_add_f64_e32 v[167:168], v[74:75], v[114:115]
	v_add_f64_e32 v[141:142], v[84:85], v[116:117]
	s_mov_b32 s30, 0x910ea3b9
	s_mov_b32 s31, 0xbfeb34fa
	v_add_f64_e64 v[171:172], v[118:119], -v[86:87]
	s_mov_b32 s28, 0x4363dd80
	s_mov_b32 s29, 0xbfe0d888
	v_add_f64_e64 v[145:146], v[116:117], -v[84:85]
	v_add_f64_e32 v[175:176], v[86:87], v[118:119]
	v_add_f64_e32 v[153:154], v[100:101], v[108:109]
	s_mov_b32 s36, 0x7faef3
	s_mov_b32 s37, 0xbfef7484
	v_add_f64_e64 v[179:180], v[110:111], -v[102:103]
	s_mov_b32 s34, 0xacd6c6b4
	s_mov_b32 s35, 0xbfc7851a
	v_add_f64_e64 v[157:158], v[108:109], -v[100:101]
	v_add_f64_e32 v[183:184], v[102:103], v[110:111]
	v_mul_f64_e32 v[213:214], s[48:49], v[56:57]
	v_mul_f64_e32 v[215:216], s[48:49], v[60:61]
	s_mov_b32 s41, 0x3fe0d888
	s_mov_b32 s40, s28
	;; [unrolled: 1-line block ×6, first 2 shown]
	s_clause 0x2
	scratch_store_b64 off, v[2:3], off offset:64
	scratch_store_b64 off, v[0:1], off offset:96
	;; [unrolled: 1-line block ×3, first 2 shown]
	v_fma_f64 v[0:1], v[131:132], s[10:11], v[0:1]
	v_fma_f64 v[2:3], v[123:124], s[6:7], v[2:3]
	;; [unrolled: 1-line block ×3, first 2 shown]
	scratch_store_b64 off, v[4:5], off offset:80 ; 8-byte Folded Spill
	v_fma_f64 v[4:5], v[127:128], s[6:7], -v[4:5]
	v_mul_f64_e32 v[205:206], s[40:41], v[129:130]
	s_mov_b32 s47, 0x3fd71e95
	s_mov_b32 s46, s4
	v_mul_f64_e32 v[241:242], s[38:39], v[56:57]
	v_mul_f64_e32 v[207:208], s[42:43], v[137:138]
	;; [unrolled: 1-line block ×5, first 2 shown]
	s_mov_b32 s53, 0x3fc7851a
	s_mov_b32 s52, s34
	v_mul_f64_e32 v[227:228], s[42:43], v[253:254]
	v_mul_f64_e32 v[223:224], s[52:53], v[217:218]
	;; [unrolled: 1-line block ×7, first 2 shown]
	s_mov_b32 s51, 0x3fe58eea
	s_mov_b32 s50, s48
	v_mul_f64_e32 v[237:238], s[10:11], v[133:134]
	v_mul_f64_e32 v[211:212], s[46:47], v[157:158]
	;; [unrolled: 1-line block ×12, first 2 shown]
	s_mov_b32 s55, 0x3fe9895b
	s_mov_b32 s54, s24
	v_add_f64_e32 v[0:1], v[16:17], v[0:1]
	s_mov_b32 s57, 0x3fefdd0d
	s_mov_b32 s56, s18
	s_load_b64 s[0:1], s[0:1], 0x8
	scratch_store_b64 off, v[8:9], off offset:232 ; 8-byte Folded Spill
	v_fma_f64 v[8:9], v[127:128], s[16:17], -v[8:9]
	v_fma_f64 v[10:11], v[123:124], s[26:27], v[221:222]
	v_fma_f64 v[12:13], v[127:128], s[26:27], -v[225:226]
	v_fma_f64 v[14:15], v[123:124], s[36:37], -v[30:31]
	v_fma_f64 v[30:31], v[123:124], s[36:37], v[30:31]
	v_fma_f64 v[36:37], v[127:128], s[36:37], v[34:35]
	v_add_f64_e32 v[0:1], v[2:3], v[0:1]
	v_mul_f64_e32 v[2:3], s[4:5], v[60:61]
	scratch_store_b64 off, v[2:3], off offset:120 ; 8-byte Folded Spill
	v_fma_f64 v[2:3], v[143:144], s[10:11], -v[2:3]
	s_delay_alu instid0(VALU_DEP_1) | instskip(NEXT) | instid1(VALU_DEP_1)
	v_add_f64_e32 v[2:3], v[18:19], v[2:3]
	v_add_f64_e32 v[2:3], v[4:5], v[2:3]
	v_mul_f64_e32 v[4:5], s[38:39], v[217:218]
	scratch_store_b64 off, v[4:5], off offset:104 ; 8-byte Folded Spill
	v_fma_f64 v[4:5], v[135:136], s[14:15], v[4:5]
	s_delay_alu instid0(VALU_DEP_1) | instskip(SKIP_3) | instid1(VALU_DEP_1)
	v_add_f64_e32 v[0:1], v[4:5], v[0:1]
	v_mul_f64_e32 v[4:5], s[38:39], v[219:220]
	scratch_store_b64 off, v[4:5], off offset:112 ; 8-byte Folded Spill
	v_fma_f64 v[4:5], v[139:140], s[14:15], -v[4:5]
	v_add_f64_e32 v[2:3], v[4:5], v[2:3]
	v_mul_f64_e32 v[4:5], s[18:19], v[253:254]
	scratch_store_b64 off, v[4:5], off offset:128 ; 8-byte Folded Spill
	v_fma_f64 v[4:5], v[147:148], s[16:17], v[4:5]
	s_delay_alu instid0(VALU_DEP_1) | instskip(SKIP_3) | instid1(VALU_DEP_1)
	v_add_f64_e32 v[0:1], v[4:5], v[0:1]
	v_mul_f64_e32 v[4:5], s[18:19], v[121:122]
	scratch_store_b64 off, v[4:5], off offset:136 ; 8-byte Folded Spill
	v_fma_f64 v[4:5], v[151:152], s[16:17], -v[4:5]
	;; [unrolled: 9-line block ×6, first 2 shown]
	v_add_f64_e32 v[2:3], v[4:5], v[2:3]
	v_fma_f64 v[4:5], v[131:132], s[6:7], v[213:214]
	s_delay_alu instid0(VALU_DEP_1) | instskip(NEXT) | instid1(VALU_DEP_1)
	v_add_f64_e32 v[4:5], v[16:17], v[4:5]
	v_add_f64_e32 v[4:5], v[6:7], v[4:5]
	v_fma_f64 v[6:7], v[143:144], s[6:7], -v[215:216]
	s_delay_alu instid0(VALU_DEP_1) | instskip(NEXT) | instid1(VALU_DEP_1)
	v_add_f64_e32 v[6:7], v[18:19], v[6:7]
	v_add_f64_e32 v[6:7], v[8:9], v[6:7]
	v_mul_f64_e32 v[8:9], s[24:25], v[217:218]
	scratch_store_b64 off, v[8:9], off offset:216 ; 8-byte Folded Spill
	v_fma_f64 v[8:9], v[135:136], s[26:27], v[8:9]
	s_delay_alu instid0(VALU_DEP_1) | instskip(SKIP_3) | instid1(VALU_DEP_1)
	v_add_f64_e32 v[4:5], v[8:9], v[4:5]
	v_mul_f64_e32 v[8:9], s[24:25], v[219:220]
	scratch_store_b64 off, v[8:9], off offset:240 ; 8-byte Folded Spill
	v_fma_f64 v[8:9], v[139:140], s[26:27], -v[8:9]
	v_add_f64_e32 v[6:7], v[8:9], v[6:7]
	v_mul_f64_e32 v[8:9], s[34:35], v[253:254]
	scratch_store_b64 off, v[8:9], off offset:224 ; 8-byte Folded Spill
	v_fma_f64 v[8:9], v[147:148], s[36:37], v[8:9]
	s_delay_alu instid0(VALU_DEP_1) | instskip(SKIP_3) | instid1(VALU_DEP_1)
	v_add_f64_e32 v[4:5], v[8:9], v[4:5]
	v_mul_f64_e32 v[8:9], s[34:35], v[121:122]
	scratch_store_b64 off, v[8:9], off offset:256 ; 8-byte Folded Spill
	v_fma_f64 v[8:9], v[151:152], s[36:37], -v[8:9]
	v_add_f64_e32 v[6:7], v[8:9], v[6:7]
	v_mul_f64_e32 v[8:9], s[30:31], v[125:126]
	scratch_store_b64 off, v[8:9], off offset:248 ; 8-byte Folded Spill
	v_fma_f64 v[8:9], v[155:156], s[40:41], v[8:9]
	s_delay_alu instid0(VALU_DEP_1) | instskip(SKIP_1) | instid1(VALU_DEP_1)
	v_add_f64_e32 v[4:5], v[8:9], v[4:5]
	v_fma_f64 v[8:9], v[159:160], s[30:31], -v[205:206]
	v_add_f64_e32 v[6:7], v[8:9], v[6:7]
	v_mul_f64_e32 v[8:9], s[22:23], v[133:134]
	scratch_store_b64 off, v[8:9], off offset:264 ; 8-byte Folded Spill
	v_fma_f64 v[8:9], v[163:164], s[42:43], v[8:9]
	s_delay_alu instid0(VALU_DEP_1) | instskip(SKIP_1) | instid1(VALU_DEP_1)
	v_add_f64_e32 v[4:5], v[8:9], v[4:5]
	v_fma_f64 v[8:9], v[167:168], s[22:23], -v[207:208]
	v_add_f64_e32 v[6:7], v[8:9], v[6:7]
	v_mul_f64_e32 v[8:9], s[14:15], v[141:142]
	scratch_store_b64 off, v[8:9], off offset:272 ; 8-byte Folded Spill
	v_fma_f64 v[8:9], v[171:172], s[44:45], v[8:9]
	global_wb scope:SCOPE_SE
	s_wait_storecnt 0x0
	s_wait_kmcnt 0x0
	s_barrier_signal -1
	s_barrier_wait -1
	global_inv scope:SCOPE_SE
	v_add_f64_e32 v[4:5], v[8:9], v[4:5]
	v_fma_f64 v[8:9], v[175:176], s[14:15], -v[209:210]
	s_delay_alu instid0(VALU_DEP_1) | instskip(SKIP_1) | instid1(VALU_DEP_1)
	v_add_f64_e32 v[6:7], v[8:9], v[6:7]
	v_fma_f64 v[8:9], v[179:180], s[46:47], v[203:204]
	v_add_f64_e32 v[4:5], v[8:9], v[4:5]
	v_fma_f64 v[8:9], v[183:184], s[10:11], -v[211:212]
	s_delay_alu instid0(VALU_DEP_1) | instskip(SKIP_1) | instid1(VALU_DEP_1)
	v_add_f64_e32 v[6:7], v[8:9], v[6:7]
	v_fma_f64 v[8:9], v[131:132], s[14:15], v[241:242]
	v_add_f64_e32 v[8:9], v[16:17], v[8:9]
	s_delay_alu instid0(VALU_DEP_1) | instskip(SKIP_1) | instid1(VALU_DEP_1)
	v_add_f64_e32 v[8:9], v[10:11], v[8:9]
	v_fma_f64 v[10:11], v[143:144], s[14:15], -v[251:252]
	v_add_f64_e32 v[10:11], v[18:19], v[10:11]
	s_delay_alu instid0(VALU_DEP_1) | instskip(SKIP_1) | instid1(VALU_DEP_1)
	v_add_f64_e32 v[10:11], v[12:13], v[10:11]
	v_fma_f64 v[12:13], v[135:136], s[36:37], v[223:224]
	v_add_f64_e32 v[8:9], v[12:13], v[8:9]
	v_fma_f64 v[12:13], v[139:140], s[36:37], -v[233:234]
	s_delay_alu instid0(VALU_DEP_1) | instskip(SKIP_1) | instid1(VALU_DEP_1)
	v_add_f64_e32 v[10:11], v[12:13], v[10:11]
	v_fma_f64 v[12:13], v[147:148], s[22:23], v[227:228]
	v_add_f64_e32 v[8:9], v[12:13], v[8:9]
	v_fma_f64 v[12:13], v[151:152], s[22:23], -v[239:240]
	;; [unrolled: 5-line block ×6, first 2 shown]
	s_delay_alu instid0(VALU_DEP_1) | instskip(SKIP_2) | instid1(VALU_DEP_2)
	v_add_f64_e32 v[10:11], v[12:13], v[10:11]
	v_fma_f64 v[12:13], v[131:132], s[16:17], -v[28:29]
	v_fma_f64 v[28:29], v[131:132], s[16:17], v[28:29]
	v_add_f64_e32 v[12:13], v[16:17], v[12:13]
	s_delay_alu instid0(VALU_DEP_2) | instskip(NEXT) | instid1(VALU_DEP_2)
	v_add_f64_e32 v[28:29], v[16:17], v[28:29]
	v_add_f64_e32 v[12:13], v[14:15], v[12:13]
	v_fma_f64 v[14:15], v[143:144], s[16:17], v[32:33]
	s_delay_alu instid0(VALU_DEP_3) | instskip(SKIP_2) | instid1(VALU_DEP_4)
	v_add_f64_e32 v[28:29], v[30:31], v[28:29]
	v_fma_f64 v[30:31], v[143:144], s[16:17], -v[32:33]
	v_fma_f64 v[32:33], v[127:128], s[36:37], -v[34:35]
	v_add_f64_e32 v[14:15], v[18:19], v[14:15]
	s_delay_alu instid0(VALU_DEP_3) | instskip(NEXT) | instid1(VALU_DEP_2)
	v_add_f64_e32 v[30:31], v[18:19], v[30:31]
	v_add_f64_e32 v[14:15], v[36:37], v[14:15]
	v_mul_f64_e32 v[36:37], s[42:43], v[217:218]
	s_delay_alu instid0(VALU_DEP_3) | instskip(NEXT) | instid1(VALU_DEP_2)
	v_add_f64_e32 v[30:31], v[32:33], v[30:31]
	v_fma_f64 v[38:39], v[135:136], s[22:23], -v[36:37]
	v_fma_f64 v[32:33], v[135:136], s[22:23], v[36:37]
	v_mul_f64_e32 v[36:37], s[20:21], v[56:57]
	s_delay_alu instid0(VALU_DEP_3) | instskip(SKIP_1) | instid1(VALU_DEP_4)
	v_add_f64_e32 v[12:13], v[38:39], v[12:13]
	v_mul_f64_e32 v[38:39], s[42:43], v[219:220]
	v_add_f64_e32 v[28:29], v[32:33], v[28:29]
	s_delay_alu instid0(VALU_DEP_2) | instskip(SKIP_2) | instid1(VALU_DEP_3)
	v_fma_f64 v[40:41], v[139:140], s[22:23], v[38:39]
	v_fma_f64 v[32:33], v[139:140], s[22:23], -v[38:39]
	v_mul_f64_e32 v[38:39], s[40:41], v[58:59]
	v_add_f64_e32 v[14:15], v[40:41], v[14:15]
	v_mul_f64_e32 v[40:41], s[46:47], v[253:254]
	s_delay_alu instid0(VALU_DEP_4) | instskip(NEXT) | instid1(VALU_DEP_2)
	v_add_f64_e32 v[30:31], v[32:33], v[30:31]
	v_fma_f64 v[42:43], v[147:148], s[10:11], -v[40:41]
	v_fma_f64 v[32:33], v[147:148], s[10:11], v[40:41]
	v_mul_f64_e32 v[40:41], s[20:21], v[60:61]
	s_delay_alu instid0(VALU_DEP_3) | instskip(SKIP_1) | instid1(VALU_DEP_4)
	v_add_f64_e32 v[12:13], v[42:43], v[12:13]
	v_mul_f64_e32 v[42:43], s[46:47], v[121:122]
	v_add_f64_e32 v[28:29], v[32:33], v[28:29]
	s_delay_alu instid0(VALU_DEP_2) | instskip(SKIP_2) | instid1(VALU_DEP_3)
	v_fma_f64 v[44:45], v[151:152], s[10:11], v[42:43]
	v_fma_f64 v[32:33], v[151:152], s[10:11], -v[42:43]
	v_mul_f64_e32 v[42:43], s[40:41], v[62:63]
	v_add_f64_e32 v[14:15], v[44:45], v[14:15]
	v_mul_f64_e32 v[44:45], s[14:15], v[125:126]
	s_delay_alu instid0(VALU_DEP_4) | instskip(NEXT) | instid1(VALU_DEP_2)
	v_add_f64_e32 v[30:31], v[32:33], v[30:31]
	v_fma_f64 v[46:47], v[155:156], s[44:45], v[44:45]
	v_fma_f64 v[32:33], v[155:156], s[38:39], v[44:45]
	;; [unrolled: 1-line block ×3, first 2 shown]
	s_delay_alu instid0(VALU_DEP_3) | instskip(SKIP_1) | instid1(VALU_DEP_4)
	v_add_f64_e32 v[12:13], v[46:47], v[12:13]
	v_mul_f64_e32 v[46:47], s[38:39], v[129:130]
	v_add_f64_e32 v[28:29], v[32:33], v[28:29]
	s_delay_alu instid0(VALU_DEP_2) | instskip(SKIP_1) | instid1(VALU_DEP_2)
	v_fma_f64 v[48:49], v[159:160], s[14:15], v[46:47]
	v_fma_f64 v[32:33], v[159:160], s[14:15], -v[46:47]
	v_add_f64_e32 v[14:15], v[48:49], v[14:15]
	v_mul_f64_e32 v[48:49], s[30:31], v[133:134]
	s_delay_alu instid0(VALU_DEP_3) | instskip(NEXT) | instid1(VALU_DEP_2)
	v_add_f64_e32 v[30:31], v[32:33], v[30:31]
	v_fma_f64 v[50:51], v[163:164], s[40:41], v[48:49]
	v_fma_f64 v[32:33], v[163:164], s[28:29], v[48:49]
	s_delay_alu instid0(VALU_DEP_2) | instskip(SKIP_1) | instid1(VALU_DEP_3)
	v_add_f64_e32 v[12:13], v[50:51], v[12:13]
	v_mul_f64_e32 v[50:51], s[28:29], v[137:138]
	v_add_f64_e32 v[28:29], v[32:33], v[28:29]
	s_delay_alu instid0(VALU_DEP_2) | instskip(SKIP_1) | instid1(VALU_DEP_2)
	v_fma_f64 v[52:53], v[167:168], s[30:31], v[50:51]
	v_fma_f64 v[32:33], v[167:168], s[30:31], -v[50:51]
	v_add_f64_e32 v[14:15], v[52:53], v[14:15]
	v_mul_f64_e32 v[52:53], s[26:27], v[141:142]
	s_delay_alu instid0(VALU_DEP_3) | instskip(NEXT) | instid1(VALU_DEP_2)
	v_add_f64_e32 v[30:31], v[32:33], v[30:31]
	v_fma_f64 v[54:55], v[171:172], s[24:25], v[52:53]
	v_fma_f64 v[32:33], v[171:172], s[54:55], v[52:53]
	s_delay_alu instid0(VALU_DEP_2) | instskip(SKIP_1) | instid1(VALU_DEP_3)
	;; [unrolled: 13-line block ×3, first 2 shown]
	v_add_f64_e32 v[12:13], v[165:166], v[12:13]
	v_mul_f64_e32 v[165:166], s[50:51], v[157:158]
	v_add_f64_e32 v[28:29], v[32:33], v[28:29]
	v_fma_f64 v[32:33], v[131:132], s[22:23], -v[36:37]
	v_fma_f64 v[36:37], v[131:132], s[22:23], v[36:37]
	s_delay_alu instid0(VALU_DEP_4) | instskip(SKIP_1) | instid1(VALU_DEP_4)
	v_fma_f64 v[34:35], v[183:184], s[6:7], -v[165:166]
	v_fma_f64 v[169:170], v[183:184], s[6:7], v[165:166]
	v_add_f64_e32 v[32:33], v[16:17], v[32:33]
	s_delay_alu instid0(VALU_DEP_4) | instskip(NEXT) | instid1(VALU_DEP_4)
	v_add_f64_e32 v[36:37], v[16:17], v[36:37]
	v_add_f64_e32 v[30:31], v[34:35], v[30:31]
	v_fma_f64 v[34:35], v[123:124], s[30:31], -v[38:39]
	v_fma_f64 v[38:39], v[123:124], s[30:31], v[38:39]
	v_add_f64_e32 v[14:15], v[169:170], v[14:15]
	s_delay_alu instid0(VALU_DEP_3) | instskip(SKIP_1) | instid1(VALU_DEP_4)
	v_add_f64_e32 v[32:33], v[34:35], v[32:33]
	v_fma_f64 v[34:35], v[143:144], s[22:23], v[40:41]
	v_add_f64_e32 v[36:37], v[38:39], v[36:37]
	v_fma_f64 v[38:39], v[143:144], s[22:23], -v[40:41]
	v_fma_f64 v[40:41], v[127:128], s[30:31], -v[42:43]
	s_delay_alu instid0(VALU_DEP_4) | instskip(NEXT) | instid1(VALU_DEP_3)
	v_add_f64_e32 v[34:35], v[18:19], v[34:35]
	v_add_f64_e32 v[38:39], v[18:19], v[38:39]
	s_delay_alu instid0(VALU_DEP_2) | instskip(SKIP_1) | instid1(VALU_DEP_3)
	v_add_f64_e32 v[34:35], v[44:45], v[34:35]
	v_mul_f64_e32 v[44:45], s[50:51], v[217:218]
	v_add_f64_e32 v[38:39], v[40:41], v[38:39]
	s_delay_alu instid0(VALU_DEP_2) | instskip(SKIP_2) | instid1(VALU_DEP_3)
	v_fma_f64 v[46:47], v[135:136], s[6:7], -v[44:45]
	v_fma_f64 v[40:41], v[135:136], s[6:7], v[44:45]
	v_mul_f64_e32 v[44:45], s[24:25], v[56:57]
	v_add_f64_e32 v[32:33], v[46:47], v[32:33]
	v_mul_f64_e32 v[46:47], s[50:51], v[219:220]
	s_delay_alu instid0(VALU_DEP_4) | instskip(NEXT) | instid1(VALU_DEP_2)
	v_add_f64_e32 v[36:37], v[40:41], v[36:37]
	v_fma_f64 v[48:49], v[139:140], s[6:7], v[46:47]
	v_fma_f64 v[40:41], v[139:140], s[6:7], -v[46:47]
	v_mul_f64_e32 v[46:47], s[42:43], v[58:59]
	s_delay_alu instid0(VALU_DEP_3) | instskip(SKIP_1) | instid1(VALU_DEP_4)
	v_add_f64_e32 v[34:35], v[48:49], v[34:35]
	v_mul_f64_e32 v[48:49], s[38:39], v[253:254]
	v_add_f64_e32 v[38:39], v[40:41], v[38:39]
	s_delay_alu instid0(VALU_DEP_2) | instskip(SKIP_2) | instid1(VALU_DEP_3)
	v_fma_f64 v[50:51], v[147:148], s[14:15], -v[48:49]
	v_fma_f64 v[40:41], v[147:148], s[14:15], v[48:49]
	v_mul_f64_e32 v[48:49], s[24:25], v[60:61]
	v_add_f64_e32 v[32:33], v[50:51], v[32:33]
	v_mul_f64_e32 v[50:51], s[38:39], v[121:122]
	s_delay_alu instid0(VALU_DEP_4) | instskip(NEXT) | instid1(VALU_DEP_2)
	v_add_f64_e32 v[36:37], v[40:41], v[36:37]
	v_fma_f64 v[52:53], v[151:152], s[14:15], v[50:51]
	v_fma_f64 v[40:41], v[151:152], s[14:15], -v[50:51]
	v_mul_f64_e32 v[50:51], s[42:43], v[62:63]
	s_delay_alu instid0(VALU_DEP_3) | instskip(SKIP_1) | instid1(VALU_DEP_4)
	v_add_f64_e32 v[34:35], v[52:53], v[34:35]
	v_mul_f64_e32 v[52:53], s[36:37], v[125:126]
	v_add_f64_e32 v[38:39], v[40:41], v[38:39]
	s_delay_alu instid0(VALU_DEP_2) | instskip(SKIP_2) | instid1(VALU_DEP_3)
	v_fma_f64 v[54:55], v[155:156], s[52:53], v[52:53]
	v_fma_f64 v[40:41], v[155:156], s[34:35], v[52:53]
	;; [unrolled: 1-line block ×3, first 2 shown]
	v_add_f64_e32 v[32:33], v[54:55], v[32:33]
	v_mul_f64_e32 v[54:55], s[34:35], v[129:130]
	s_delay_alu instid0(VALU_DEP_4) | instskip(NEXT) | instid1(VALU_DEP_2)
	v_add_f64_e32 v[36:37], v[40:41], v[36:37]
	v_fma_f64 v[161:162], v[159:160], s[36:37], v[54:55]
	v_fma_f64 v[40:41], v[159:160], s[36:37], -v[54:55]
	s_delay_alu instid0(VALU_DEP_2) | instskip(SKIP_1) | instid1(VALU_DEP_3)
	v_add_f64_e32 v[34:35], v[161:162], v[34:35]
	v_mul_f64_e32 v[161:162], s[16:17], v[133:134]
	v_add_f64_e32 v[38:39], v[40:41], v[38:39]
	s_delay_alu instid0(VALU_DEP_2) | instskip(SKIP_1) | instid1(VALU_DEP_2)
	v_fma_f64 v[165:166], v[163:164], s[18:19], v[161:162]
	v_fma_f64 v[40:41], v[163:164], s[56:57], v[161:162]
	v_add_f64_e32 v[32:33], v[165:166], v[32:33]
	v_mul_f64_e32 v[165:166], s[56:57], v[137:138]
	s_delay_alu instid0(VALU_DEP_3) | instskip(NEXT) | instid1(VALU_DEP_2)
	v_add_f64_e32 v[36:37], v[40:41], v[36:37]
	v_fma_f64 v[169:170], v[167:168], s[16:17], v[165:166]
	v_fma_f64 v[40:41], v[167:168], s[16:17], -v[165:166]
	s_delay_alu instid0(VALU_DEP_2) | instskip(SKIP_1) | instid1(VALU_DEP_3)
	v_add_f64_e32 v[34:35], v[169:170], v[34:35]
	v_mul_f64_e32 v[169:170], s[10:11], v[141:142]
	v_add_f64_e32 v[38:39], v[40:41], v[38:39]
	s_delay_alu instid0(VALU_DEP_2) | instskip(SKIP_1) | instid1(VALU_DEP_2)
	v_fma_f64 v[173:174], v[171:172], s[46:47], v[169:170]
	v_fma_f64 v[40:41], v[171:172], s[4:5], v[169:170]
	v_add_f64_e32 v[32:33], v[173:174], v[32:33]
	v_mul_f64_e32 v[173:174], s[4:5], v[145:146]
	s_delay_alu instid0(VALU_DEP_3) | instskip(NEXT) | instid1(VALU_DEP_2)
	v_add_f64_e32 v[36:37], v[40:41], v[36:37]
	v_fma_f64 v[177:178], v[175:176], s[10:11], v[173:174]
	v_fma_f64 v[40:41], v[175:176], s[10:11], -v[173:174]
	s_delay_alu instid0(VALU_DEP_2) | instskip(SKIP_1) | instid1(VALU_DEP_3)
	v_add_f64_e32 v[34:35], v[177:178], v[34:35]
	v_mul_f64_e32 v[177:178], s[26:27], v[153:154]
	v_add_f64_e32 v[38:39], v[40:41], v[38:39]
	s_delay_alu instid0(VALU_DEP_2) | instskip(SKIP_1) | instid1(VALU_DEP_2)
	v_fma_f64 v[181:182], v[179:180], s[54:55], v[177:178]
	v_fma_f64 v[40:41], v[179:180], s[24:25], v[177:178]
	v_add_f64_e32 v[32:33], v[181:182], v[32:33]
	v_mul_f64_e32 v[181:182], s[24:25], v[157:158]
	s_delay_alu instid0(VALU_DEP_3) | instskip(SKIP_2) | instid1(VALU_DEP_4)
	v_add_f64_e32 v[36:37], v[40:41], v[36:37]
	v_fma_f64 v[40:41], v[131:132], s[26:27], -v[44:45]
	v_fma_f64 v[44:45], v[131:132], s[26:27], v[44:45]
	v_fma_f64 v[42:43], v[183:184], s[26:27], -v[181:182]
	v_fma_f64 v[185:186], v[183:184], s[26:27], v[181:182]
	s_delay_alu instid0(VALU_DEP_4) | instskip(NEXT) | instid1(VALU_DEP_4)
	v_add_f64_e32 v[40:41], v[16:17], v[40:41]
	v_add_f64_e32 v[44:45], v[16:17], v[44:45]
	s_delay_alu instid0(VALU_DEP_4) | instskip(SKIP_3) | instid1(VALU_DEP_3)
	v_add_f64_e32 v[38:39], v[42:43], v[38:39]
	v_fma_f64 v[42:43], v[123:124], s[22:23], -v[46:47]
	v_fma_f64 v[46:47], v[123:124], s[22:23], v[46:47]
	v_add_f64_e32 v[34:35], v[185:186], v[34:35]
	v_add_f64_e32 v[40:41], v[42:43], v[40:41]
	v_fma_f64 v[42:43], v[143:144], s[26:27], v[48:49]
	s_delay_alu instid0(VALU_DEP_4) | instskip(SKIP_2) | instid1(VALU_DEP_4)
	v_add_f64_e32 v[44:45], v[46:47], v[44:45]
	v_fma_f64 v[46:47], v[143:144], s[26:27], -v[48:49]
	v_fma_f64 v[48:49], v[127:128], s[22:23], -v[50:51]
	v_add_f64_e32 v[42:43], v[18:19], v[42:43]
	s_delay_alu instid0(VALU_DEP_3) | instskip(NEXT) | instid1(VALU_DEP_2)
	v_add_f64_e32 v[46:47], v[18:19], v[46:47]
	v_add_f64_e32 v[42:43], v[52:53], v[42:43]
	v_mul_f64_e32 v[52:53], s[4:5], v[217:218]
	s_delay_alu instid0(VALU_DEP_3) | instskip(NEXT) | instid1(VALU_DEP_2)
	v_add_f64_e32 v[46:47], v[48:49], v[46:47]
	v_fma_f64 v[54:55], v[135:136], s[10:11], -v[52:53]
	v_fma_f64 v[48:49], v[135:136], s[10:11], v[52:53]
	v_mul_f64_e32 v[52:53], s[28:29], v[56:57]
	s_delay_alu instid0(VALU_DEP_3) | instskip(SKIP_1) | instid1(VALU_DEP_4)
	v_add_f64_e32 v[40:41], v[54:55], v[40:41]
	v_mul_f64_e32 v[54:55], s[4:5], v[219:220]
	v_add_f64_e32 v[44:45], v[48:49], v[44:45]
	s_delay_alu instid0(VALU_DEP_2) | instskip(SKIP_2) | instid1(VALU_DEP_3)
	v_fma_f64 v[161:162], v[139:140], s[10:11], v[54:55]
	v_fma_f64 v[48:49], v[139:140], s[10:11], -v[54:55]
	v_mul_f64_e32 v[54:55], s[44:45], v[58:59]
	v_add_f64_e32 v[42:43], v[161:162], v[42:43]
	v_mul_f64_e32 v[161:162], s[28:29], v[253:254]
	s_delay_alu instid0(VALU_DEP_4) | instskip(NEXT) | instid1(VALU_DEP_2)
	v_add_f64_e32 v[46:47], v[48:49], v[46:47]
	v_fma_f64 v[165:166], v[147:148], s[30:31], -v[161:162]
	v_fma_f64 v[48:49], v[147:148], s[30:31], v[161:162]
	v_mul_f64_e32 v[161:162], s[28:29], v[60:61]
	v_mul_f64_e32 v[60:61], s[34:35], v[60:61]
	s_delay_alu instid0(VALU_DEP_4) | instskip(SKIP_2) | instid1(VALU_DEP_2)
	v_add_f64_e32 v[40:41], v[165:166], v[40:41]
	v_mul_f64_e32 v[165:166], s[28:29], v[121:122]
	v_add_f64_e32 v[44:45], v[48:49], v[44:45]
	v_fma_f64 v[169:170], v[151:152], s[30:31], v[165:166]
	v_fma_f64 v[48:49], v[151:152], s[30:31], -v[165:166]
	v_mul_f64_e32 v[165:166], s[44:45], v[62:63]
	v_mul_f64_e32 v[62:63], s[46:47], v[62:63]
	s_delay_alu instid0(VALU_DEP_4) | instskip(SKIP_2) | instid1(VALU_DEP_2)
	v_add_f64_e32 v[42:43], v[169:170], v[42:43]
	v_mul_f64_e32 v[169:170], s[16:17], v[125:126]
	v_add_f64_e32 v[46:47], v[48:49], v[46:47]
	v_fma_f64 v[173:174], v[155:156], s[18:19], v[169:170]
	v_fma_f64 v[48:49], v[155:156], s[56:57], v[169:170]
	v_fma_f64 v[169:170], v[127:128], s[14:15], v[165:166]
	s_delay_alu instid0(VALU_DEP_3) | instskip(SKIP_1) | instid1(VALU_DEP_4)
	v_add_f64_e32 v[40:41], v[173:174], v[40:41]
	v_mul_f64_e32 v[173:174], s[56:57], v[129:130]
	v_add_f64_e32 v[44:45], v[48:49], v[44:45]
	s_delay_alu instid0(VALU_DEP_2) | instskip(SKIP_1) | instid1(VALU_DEP_2)
	v_fma_f64 v[177:178], v[159:160], s[16:17], v[173:174]
	v_fma_f64 v[48:49], v[159:160], s[16:17], -v[173:174]
	v_add_f64_e32 v[42:43], v[177:178], v[42:43]
	v_mul_f64_e32 v[177:178], s[6:7], v[133:134]
	s_delay_alu instid0(VALU_DEP_3) | instskip(NEXT) | instid1(VALU_DEP_2)
	v_add_f64_e32 v[46:47], v[48:49], v[46:47]
	v_fma_f64 v[181:182], v[163:164], s[50:51], v[177:178]
	v_fma_f64 v[48:49], v[163:164], s[48:49], v[177:178]
	s_delay_alu instid0(VALU_DEP_2) | instskip(SKIP_1) | instid1(VALU_DEP_3)
	v_add_f64_e32 v[40:41], v[181:182], v[40:41]
	v_mul_f64_e32 v[181:182], s[48:49], v[137:138]
	v_add_f64_e32 v[44:45], v[48:49], v[44:45]
	s_delay_alu instid0(VALU_DEP_2) | instskip(SKIP_1) | instid1(VALU_DEP_2)
	v_fma_f64 v[185:186], v[167:168], s[6:7], v[181:182]
	v_fma_f64 v[48:49], v[167:168], s[6:7], -v[181:182]
	v_add_f64_e32 v[42:43], v[185:186], v[42:43]
	v_mul_f64_e32 v[185:186], s[36:37], v[141:142]
	s_delay_alu instid0(VALU_DEP_3) | instskip(NEXT) | instid1(VALU_DEP_2)
	v_add_f64_e32 v[46:47], v[48:49], v[46:47]
	v_fma_f64 v[187:188], v[171:172], s[52:53], v[185:186]
	v_fma_f64 v[48:49], v[171:172], s[34:35], v[185:186]
	s_delay_alu instid0(VALU_DEP_2) | instskip(SKIP_1) | instid1(VALU_DEP_3)
	v_add_f64_e32 v[40:41], v[187:188], v[40:41]
	v_mul_f64_e32 v[187:188], s[34:35], v[145:146]
	v_add_f64_e32 v[44:45], v[48:49], v[44:45]
	s_delay_alu instid0(VALU_DEP_2) | instskip(SKIP_1) | instid1(VALU_DEP_2)
	v_fma_f64 v[189:190], v[175:176], s[36:37], v[187:188]
	v_fma_f64 v[48:49], v[175:176], s[36:37], -v[187:188]
	v_add_f64_e32 v[42:43], v[189:190], v[42:43]
	v_mul_f64_e32 v[189:190], s[14:15], v[153:154]
	s_delay_alu instid0(VALU_DEP_3) | instskip(NEXT) | instid1(VALU_DEP_2)
	v_add_f64_e32 v[46:47], v[48:49], v[46:47]
	v_fma_f64 v[191:192], v[179:180], s[38:39], v[189:190]
	v_fma_f64 v[48:49], v[179:180], s[44:45], v[189:190]
	s_delay_alu instid0(VALU_DEP_2) | instskip(SKIP_1) | instid1(VALU_DEP_3)
	v_add_f64_e32 v[40:41], v[191:192], v[40:41]
	v_mul_f64_e32 v[191:192], s[44:45], v[157:158]
	v_add_f64_e32 v[44:45], v[48:49], v[44:45]
	v_fma_f64 v[48:49], v[131:132], s[30:31], -v[52:53]
	v_fma_f64 v[52:53], v[131:132], s[30:31], v[52:53]
	s_delay_alu instid0(VALU_DEP_4) | instskip(SKIP_1) | instid1(VALU_DEP_4)
	v_fma_f64 v[50:51], v[183:184], s[14:15], -v[191:192]
	v_fma_f64 v[193:194], v[183:184], s[14:15], v[191:192]
	v_add_f64_e32 v[48:49], v[16:17], v[48:49]
	s_delay_alu instid0(VALU_DEP_4) | instskip(NEXT) | instid1(VALU_DEP_4)
	v_add_f64_e32 v[52:53], v[16:17], v[52:53]
	v_add_f64_e32 v[46:47], v[50:51], v[46:47]
	v_fma_f64 v[50:51], v[123:124], s[14:15], -v[54:55]
	v_fma_f64 v[54:55], v[123:124], s[14:15], v[54:55]
	v_add_f64_e32 v[42:43], v[193:194], v[42:43]
	s_delay_alu instid0(VALU_DEP_3) | instskip(SKIP_1) | instid1(VALU_DEP_4)
	v_add_f64_e32 v[48:49], v[50:51], v[48:49]
	v_fma_f64 v[50:51], v[143:144], s[30:31], v[161:162]
	v_add_f64_e32 v[52:53], v[54:55], v[52:53]
	v_fma_f64 v[54:55], v[143:144], s[30:31], -v[161:162]
	v_fma_f64 v[161:162], v[127:128], s[14:15], -v[165:166]
	s_delay_alu instid0(VALU_DEP_4) | instskip(NEXT) | instid1(VALU_DEP_3)
	v_add_f64_e32 v[50:51], v[18:19], v[50:51]
	v_add_f64_e32 v[54:55], v[18:19], v[54:55]
	s_delay_alu instid0(VALU_DEP_2) | instskip(SKIP_1) | instid1(VALU_DEP_3)
	v_add_f64_e32 v[50:51], v[169:170], v[50:51]
	v_mul_f64_e32 v[169:170], s[18:19], v[217:218]
	v_add_f64_e32 v[54:55], v[161:162], v[54:55]
	s_delay_alu instid0(VALU_DEP_2) | instskip(SKIP_3) | instid1(VALU_DEP_4)
	v_fma_f64 v[173:174], v[135:136], s[16:17], -v[169:170]
	v_fma_f64 v[161:162], v[135:136], s[16:17], v[169:170]
	v_fma_f64 v[169:170], v[127:128], s[10:11], v[62:63]
	v_fma_f64 v[62:63], v[127:128], s[10:11], -v[62:63]
	v_add_f64_e32 v[48:49], v[173:174], v[48:49]
	v_mul_f64_e32 v[173:174], s[18:19], v[219:220]
	v_add_f64_e32 v[52:53], v[161:162], v[52:53]
	s_delay_alu instid0(VALU_DEP_2) | instskip(SKIP_1) | instid1(VALU_DEP_2)
	v_fma_f64 v[177:178], v[139:140], s[16:17], v[173:174]
	v_fma_f64 v[161:162], v[139:140], s[16:17], -v[173:174]
	v_add_f64_e32 v[50:51], v[177:178], v[50:51]
	v_mul_f64_e32 v[177:178], s[54:55], v[253:254]
	s_delay_alu instid0(VALU_DEP_3) | instskip(NEXT) | instid1(VALU_DEP_2)
	v_add_f64_e32 v[54:55], v[161:162], v[54:55]
	v_fma_f64 v[181:182], v[147:148], s[26:27], -v[177:178]
	v_fma_f64 v[161:162], v[147:148], s[26:27], v[177:178]
	s_delay_alu instid0(VALU_DEP_2) | instskip(SKIP_1) | instid1(VALU_DEP_3)
	v_add_f64_e32 v[48:49], v[181:182], v[48:49]
	v_mul_f64_e32 v[181:182], s[54:55], v[121:122]
	v_add_f64_e32 v[52:53], v[161:162], v[52:53]
	v_mul_f64_e32 v[121:122], s[50:51], v[121:122]
	s_delay_alu instid0(VALU_DEP_3) | instskip(SKIP_1) | instid1(VALU_DEP_2)
	v_fma_f64 v[185:186], v[151:152], s[26:27], v[181:182]
	v_fma_f64 v[161:162], v[151:152], s[26:27], -v[181:182]
	v_add_f64_e32 v[50:51], v[185:186], v[50:51]
	v_mul_f64_e32 v[185:186], s[10:11], v[125:126]
	s_delay_alu instid0(VALU_DEP_3) | instskip(SKIP_1) | instid1(VALU_DEP_3)
	v_add_f64_e32 v[54:55], v[161:162], v[54:55]
	v_mul_f64_e32 v[125:126], s[26:27], v[125:126]
	v_fma_f64 v[187:188], v[155:156], s[46:47], v[185:186]
	v_fma_f64 v[161:162], v[155:156], s[4:5], v[185:186]
	s_delay_alu instid0(VALU_DEP_2) | instskip(SKIP_1) | instid1(VALU_DEP_3)
	v_add_f64_e32 v[48:49], v[187:188], v[48:49]
	v_mul_f64_e32 v[187:188], s[4:5], v[129:130]
	v_add_f64_e32 v[52:53], v[161:162], v[52:53]
	v_mul_f64_e32 v[129:130], s[24:25], v[129:130]
	s_delay_alu instid0(VALU_DEP_3) | instskip(SKIP_1) | instid1(VALU_DEP_2)
	v_fma_f64 v[189:190], v[159:160], s[10:11], v[187:188]
	v_fma_f64 v[161:162], v[159:160], s[10:11], -v[187:188]
	v_add_f64_e32 v[50:51], v[189:190], v[50:51]
	v_mul_f64_e32 v[189:190], s[36:37], v[133:134]
	s_delay_alu instid0(VALU_DEP_3) | instskip(SKIP_1) | instid1(VALU_DEP_3)
	v_add_f64_e32 v[54:55], v[161:162], v[54:55]
	v_mul_f64_e32 v[133:134], s[14:15], v[133:134]
	v_fma_f64 v[191:192], v[163:164], s[52:53], v[189:190]
	;; [unrolled: 15-line block ×4, first 2 shown]
	v_fma_f64 v[161:162], v[179:180], s[20:21], v[197:198]
	s_delay_alu instid0(VALU_DEP_2) | instskip(SKIP_1) | instid1(VALU_DEP_3)
	v_add_f64_e32 v[48:49], v[199:200], v[48:49]
	v_mul_f64_e32 v[199:200], s[20:21], v[157:158]
	v_add_f64_e32 v[52:53], v[161:162], v[52:53]
	v_mul_f64_e32 v[161:162], s[34:35], v[56:57]
	v_mul_f64_e32 v[157:158], s[56:57], v[157:158]
	s_delay_alu instid0(VALU_DEP_4) | instskip(SKIP_1) | instid1(VALU_DEP_4)
	v_fma_f64 v[165:166], v[183:184], s[22:23], -v[199:200]
	v_fma_f64 v[201:202], v[183:184], s[22:23], v[199:200]
	v_fma_f64 v[56:57], v[131:132], s[36:37], -v[161:162]
	v_fma_f64 v[161:162], v[131:132], s[36:37], v[161:162]
	s_delay_alu instid0(VALU_DEP_4) | instskip(SKIP_1) | instid1(VALU_DEP_4)
	v_add_f64_e32 v[54:55], v[165:166], v[54:55]
	v_mul_f64_e32 v[165:166], s[46:47], v[58:59]
	v_add_f64_e32 v[56:57], v[16:17], v[56:57]
	s_delay_alu instid0(VALU_DEP_4) | instskip(SKIP_1) | instid1(VALU_DEP_4)
	v_add_f64_e32 v[161:162], v[16:17], v[161:162]
	v_add_f64_e32 v[50:51], v[201:202], v[50:51]
	v_fma_f64 v[58:59], v[123:124], s[10:11], -v[165:166]
	v_fma_f64 v[165:166], v[123:124], s[10:11], v[165:166]
	s_delay_alu instid0(VALU_DEP_2) | instskip(SKIP_2) | instid1(VALU_DEP_4)
	v_add_f64_e32 v[56:57], v[58:59], v[56:57]
	v_fma_f64 v[58:59], v[143:144], s[36:37], v[60:61]
	v_fma_f64 v[60:61], v[143:144], s[36:37], -v[60:61]
	v_add_f64_e32 v[161:162], v[165:166], v[161:162]
	s_delay_alu instid0(VALU_DEP_3) | instskip(NEXT) | instid1(VALU_DEP_3)
	v_add_f64_e32 v[58:59], v[18:19], v[58:59]
	v_add_f64_e32 v[60:61], v[18:19], v[60:61]
	s_delay_alu instid0(VALU_DEP_2) | instskip(SKIP_1) | instid1(VALU_DEP_3)
	v_add_f64_e32 v[58:59], v[169:170], v[58:59]
	v_mul_f64_e32 v[169:170], s[28:29], v[217:218]
	v_add_f64_e32 v[60:61], v[62:63], v[60:61]
	s_delay_alu instid0(VALU_DEP_2) | instskip(SKIP_1) | instid1(VALU_DEP_2)
	v_fma_f64 v[173:174], v[135:136], s[30:31], -v[169:170]
	v_fma_f64 v[62:63], v[135:136], s[30:31], v[169:170]
	v_add_f64_e32 v[56:57], v[173:174], v[56:57]
	v_mul_f64_e32 v[173:174], s[28:29], v[219:220]
	s_delay_alu instid0(VALU_DEP_3) | instskip(NEXT) | instid1(VALU_DEP_2)
	v_add_f64_e32 v[62:63], v[62:63], v[161:162]
	v_fma_f64 v[177:178], v[139:140], s[30:31], v[173:174]
	v_fma_f64 v[161:162], v[139:140], s[30:31], -v[173:174]
	s_delay_alu instid0(VALU_DEP_2) | instskip(SKIP_1) | instid1(VALU_DEP_3)
	v_add_f64_e32 v[58:59], v[177:178], v[58:59]
	v_mul_f64_e32 v[177:178], s[50:51], v[253:254]
	v_add_f64_e32 v[60:61], v[161:162], v[60:61]
	s_delay_alu instid0(VALU_DEP_2) | instskip(SKIP_1) | instid1(VALU_DEP_2)
	v_fma_f64 v[181:182], v[147:148], s[6:7], -v[177:178]
	v_fma_f64 v[161:162], v[147:148], s[6:7], v[177:178]
	v_add_f64_e32 v[56:57], v[181:182], v[56:57]
	v_fma_f64 v[181:182], v[151:152], s[6:7], v[121:122]
	v_fma_f64 v[121:122], v[151:152], s[6:7], -v[121:122]
	s_delay_alu instid0(VALU_DEP_4) | instskip(NEXT) | instid1(VALU_DEP_3)
	v_add_f64_e32 v[62:63], v[161:162], v[62:63]
	v_add_f64_e32 v[58:59], v[181:182], v[58:59]
	v_fma_f64 v[181:182], v[155:156], s[54:55], v[125:126]
	s_delay_alu instid0(VALU_DEP_4) | instskip(SKIP_2) | instid1(VALU_DEP_4)
	v_add_f64_e32 v[60:61], v[121:122], v[60:61]
	v_fma_f64 v[121:122], v[155:156], s[24:25], v[125:126]
	v_fma_f64 v[125:126], v[183:184], s[16:17], -v[157:158]
	v_add_f64_e32 v[56:57], v[181:182], v[56:57]
	v_fma_f64 v[181:182], v[159:160], s[26:27], v[129:130]
	s_delay_alu instid0(VALU_DEP_4) | instskip(SKIP_1) | instid1(VALU_DEP_3)
	v_add_f64_e32 v[62:63], v[121:122], v[62:63]
	v_fma_f64 v[121:122], v[159:160], s[26:27], -v[129:130]
	v_add_f64_e32 v[58:59], v[181:182], v[58:59]
	v_fma_f64 v[181:182], v[163:164], s[38:39], v[133:134]
	s_delay_alu instid0(VALU_DEP_3) | instskip(SKIP_1) | instid1(VALU_DEP_3)
	v_add_f64_e32 v[60:61], v[121:122], v[60:61]
	v_fma_f64 v[121:122], v[163:164], s[44:45], v[133:134]
	v_add_f64_e32 v[56:57], v[181:182], v[56:57]
	v_fma_f64 v[181:182], v[167:168], s[14:15], v[137:138]
	s_delay_alu instid0(VALU_DEP_3) | instskip(SKIP_1) | instid1(VALU_DEP_3)
	v_add_f64_e32 v[62:63], v[121:122], v[62:63]
	v_fma_f64 v[121:122], v[167:168], s[14:15], -v[137:138]
	v_add_f64_e32 v[58:59], v[181:182], v[58:59]
	v_fma_f64 v[181:182], v[171:172], s[42:43], v[141:142]
	s_delay_alu instid0(VALU_DEP_3) | instskip(SKIP_1) | instid1(VALU_DEP_3)
	v_add_f64_e32 v[60:61], v[121:122], v[60:61]
	v_fma_f64 v[121:122], v[171:172], s[20:21], v[141:142]
	v_add_f64_e32 v[56:57], v[181:182], v[56:57]
	v_fma_f64 v[181:182], v[175:176], s[22:23], v[145:146]
	s_delay_alu instid0(VALU_DEP_3) | instskip(SKIP_1) | instid1(VALU_DEP_3)
	v_add_f64_e32 v[62:63], v[121:122], v[62:63]
	v_fma_f64 v[121:122], v[175:176], s[22:23], -v[145:146]
	v_add_f64_e32 v[58:59], v[181:182], v[58:59]
	v_fma_f64 v[181:182], v[179:180], s[18:19], v[153:154]
	s_delay_alu instid0(VALU_DEP_3) | instskip(SKIP_1) | instid1(VALU_DEP_3)
	v_add_f64_e32 v[121:122], v[121:122], v[60:61]
	v_fma_f64 v[60:61], v[179:180], s[56:57], v[153:154]
	v_add_f64_e32 v[56:57], v[181:182], v[56:57]
	v_fma_f64 v[181:182], v[183:184], s[16:17], v[157:158]
	s_delay_alu instid0(VALU_DEP_3) | instskip(SKIP_2) | instid1(VALU_DEP_4)
	v_add_f64_e32 v[60:61], v[60:61], v[62:63]
	v_add_f64_e32 v[62:63], v[125:126], v[121:122]
	v_mul_lo_u16 v121, v120, 17
	v_add_f64_e32 v[58:59], v[181:182], v[58:59]
	s_and_saveexec_b32 s33, vcc_lo
	s_cbranch_execz .LBB0_7
; %bb.6:
	v_add_f64_e32 v[82:83], v[18:19], v[82:83]
	v_add_f64_e32 v[80:81], v[16:17], v[80:81]
	s_delay_alu instid0(VALU_DEP_2) | instskip(NEXT) | instid1(VALU_DEP_2)
	v_add_f64_e32 v[82:83], v[94:95], v[82:83]
	v_add_f64_e32 v[80:81], v[92:93], v[80:81]
	s_delay_alu instid0(VALU_DEP_2) | instskip(NEXT) | instid1(VALU_DEP_2)
	;; [unrolled: 3-line block ×9, first 2 shown]
	v_add_f64_e32 v[82:83], v[86:87], v[82:83]
	v_add_f64_e32 v[80:81], v[84:85], v[80:81]
	v_mul_f64_e32 v[84:85], s[10:11], v[167:168]
	scratch_load_b64 v[86:87], off, off offset:168 th:TH_LOAD_LU ; 8-byte Folded Reload
	v_add_f64_e32 v[74:75], v[74:75], v[82:83]
	v_add_f64_e32 v[72:73], v[72:73], v[80:81]
	v_mul_f64_e32 v[80:81], s[6:7], v[159:160]
	v_mul_f64_e32 v[82:83], s[50:51], v[155:156]
	v_add_f64_e32 v[84:85], v[84:85], v[249:250]
	v_add_f64_e32 v[22:23], v[22:23], v[74:75]
	;; [unrolled: 1-line block ×3, first 2 shown]
	scratch_load_b64 v[72:73], off, off offset:96 th:TH_LOAD_LU ; 8-byte Folded Reload
	v_mul_f64_e32 v[74:75], s[36:37], v[135:136]
	v_add_f64_e32 v[80:81], v[80:81], v[245:246]
	v_add_f64_e64 v[82:83], v[235:236], -v[82:83]
	v_add_f64_e32 v[22:23], v[78:79], v[22:23]
	v_add_f64_e32 v[20:21], v[76:77], v[20:21]
	v_mul_f64_e32 v[76:77], s[22:23], v[151:152]
	v_add_f64_e64 v[74:75], v[74:75], -v[223:224]
	v_mul_f64_e32 v[78:79], s[22:23], v[147:148]
	v_add_f64_e32 v[22:23], v[66:67], v[22:23]
	v_add_f64_e32 v[20:21], v[64:65], v[20:21]
	v_mul_f64_e32 v[64:65], s[6:7], v[143:144]
	v_mul_f64_e32 v[66:67], s[6:7], v[131:132]
	v_add_f64_e32 v[76:77], v[239:240], v[76:77]
	v_add_f64_e64 v[78:79], v[78:79], -v[227:228]
	v_add_f64_e32 v[22:23], v[26:27], v[22:23]
	v_add_f64_e32 v[20:21], v[24:25], v[20:21]
	v_mul_f64_e32 v[24:25], s[14:15], v[143:144]
	v_mul_f64_e32 v[26:27], s[14:15], v[131:132]
	v_add_f64_e32 v[64:65], v[215:216], v[64:65]
	v_add_f64_e64 v[66:67], v[66:67], -v[213:214]
	v_add_f64_e32 v[22:23], v[70:71], v[22:23]
	scratch_load_b64 v[70:71], off, off offset:120 th:TH_LOAD_LU ; 8-byte Folded Reload
	v_add_f64_e32 v[20:21], v[68:69], v[20:21]
	v_mul_f64_e32 v[68:69], s[10:11], v[143:144]
	v_add_f64_e32 v[24:25], v[251:252], v[24:25]
	v_add_f64_e64 v[26:27], v[26:27], -v[241:242]
	v_add_f64_e32 v[64:65], v[18:19], v[64:65]
	v_add_f64_e32 v[66:67], v[16:17], v[66:67]
	s_delay_alu instid0(VALU_DEP_4) | instskip(NEXT) | instid1(VALU_DEP_4)
	v_add_f64_e32 v[24:25], v[18:19], v[24:25]
	v_add_f64_e32 v[26:27], v[16:17], v[26:27]
	s_wait_loadcnt 0x0
	v_add_f64_e32 v[68:69], v[70:71], v[68:69]
	v_mul_f64_e32 v[70:71], s[10:11], v[131:132]
	s_delay_alu instid0(VALU_DEP_2) | instskip(NEXT) | instid1(VALU_DEP_2)
	v_add_f64_e32 v[68:69], v[18:19], v[68:69]
	v_add_f64_e64 v[70:71], v[70:71], -v[72:73]
	v_mul_f64_e32 v[18:19], s[26:27], v[123:124]
	v_mul_f64_e32 v[72:73], s[36:37], v[139:140]
	s_delay_alu instid0(VALU_DEP_3) | instskip(SKIP_1) | instid1(VALU_DEP_4)
	v_add_f64_e32 v[70:71], v[16:17], v[70:71]
	v_mul_f64_e32 v[16:17], s[26:27], v[127:128]
	v_add_f64_e64 v[18:19], v[18:19], -v[221:222]
	s_delay_alu instid0(VALU_DEP_4) | instskip(NEXT) | instid1(VALU_DEP_3)
	v_add_f64_e32 v[72:73], v[233:234], v[72:73]
	v_add_f64_e32 v[16:17], v[225:226], v[16:17]
	s_delay_alu instid0(VALU_DEP_3) | instskip(SKIP_1) | instid1(VALU_DEP_3)
	v_add_f64_e32 v[18:19], v[18:19], v[26:27]
	v_mul_f64_e32 v[26:27], s[16:17], v[175:176]
	v_add_f64_e32 v[16:17], v[16:17], v[24:25]
	s_delay_alu instid0(VALU_DEP_3) | instskip(SKIP_1) | instid1(VALU_DEP_4)
	v_add_f64_e32 v[18:19], v[74:75], v[18:19]
	v_mul_f64_e32 v[24:25], s[4:5], v[163:164]
	v_add_f64_e32 v[26:27], v[26:27], v[247:248]
	v_mul_f64_e32 v[74:75], s[30:31], v[183:184]
	v_add_f64_e32 v[16:17], v[72:73], v[16:17]
	v_add_f64_e32 v[18:19], v[78:79], v[18:19]
	v_add_f64_e64 v[24:25], v[237:238], -v[24:25]
	v_mul_f64_e32 v[72:73], s[18:19], v[171:172]
	v_add_f64_e32 v[74:75], v[74:75], v[243:244]
	scratch_load_b64 v[78:79], off, off offset:256 th:TH_LOAD_LU ; 8-byte Folded Reload
	v_add_f64_e32 v[16:17], v[76:77], v[16:17]
	v_add_f64_e32 v[18:19], v[82:83], v[18:19]
	v_mul_f64_e32 v[82:83], s[40:41], v[155:156]
	v_add_f64_e64 v[72:73], v[231:232], -v[72:73]
	scratch_load_b64 v[76:77], off, off offset:216 th:TH_LOAD_LU ; 8-byte Folded Reload
	v_add_f64_e32 v[16:17], v[80:81], v[16:17]
	scratch_load_b64 v[80:81], off, off offset:224 th:TH_LOAD_LU ; 8-byte Folded Reload
	v_add_f64_e32 v[18:19], v[24:25], v[18:19]
	v_mul_f64_e32 v[24:25], s[28:29], v[179:180]
	v_add_f64_e32 v[16:17], v[84:85], v[16:17]
	s_delay_alu instid0(VALU_DEP_2) | instskip(NEXT) | instid1(VALU_DEP_2)
	v_add_f64_e64 v[24:25], v[229:230], -v[24:25]
	v_add_f64_e32 v[16:17], v[26:27], v[16:17]
	v_add_f64_e32 v[26:27], v[72:73], v[18:19]
	scratch_load_b64 v[72:73], off, off offset:208 th:TH_LOAD_LU ; 8-byte Folded Reload
	v_add_f64_e32 v[18:19], v[74:75], v[16:17]
	v_add_f64_e32 v[16:17], v[24:25], v[26:27]
	s_clause 0x1
	scratch_load_b64 v[26:27], off, off offset:232 th:TH_LOAD_LU
	scratch_load_b64 v[74:75], off, off offset:240 th:TH_LOAD_LU
	v_mul_f64_e32 v[24:25], s[16:17], v[127:128]
	s_wait_loadcnt 0x1
	s_delay_alu instid0(VALU_DEP_1) | instskip(SKIP_1) | instid1(VALU_DEP_2)
	v_add_f64_e32 v[24:25], v[26:27], v[24:25]
	v_mul_f64_e32 v[26:27], s[16:17], v[123:124]
	v_add_f64_e32 v[24:25], v[24:25], v[64:65]
	s_delay_alu instid0(VALU_DEP_2) | instskip(SKIP_2) | instid1(VALU_DEP_3)
	v_add_f64_e64 v[26:27], v[26:27], -v[72:73]
	v_mul_f64_e32 v[72:73], s[26:27], v[139:140]
	v_mul_f64_e32 v[64:65], s[42:43], v[163:164]
	v_add_f64_e32 v[26:27], v[26:27], v[66:67]
	s_clause 0x1
	scratch_load_b64 v[66:67], off, off offset:264 th:TH_LOAD_LU
	scratch_load_b64 v[84:85], off, off offset:248 th:TH_LOAD_LU
	s_wait_loadcnt 0x2
	v_add_f64_e32 v[72:73], v[74:75], v[72:73]
	v_mul_f64_e32 v[74:75], s[26:27], v[135:136]
	s_delay_alu instid0(VALU_DEP_2) | instskip(NEXT) | instid1(VALU_DEP_2)
	v_add_f64_e32 v[24:25], v[72:73], v[24:25]
	v_add_f64_e64 v[74:75], v[74:75], -v[76:77]
	v_mul_f64_e32 v[76:77], s[36:37], v[151:152]
	v_mul_f64_e32 v[72:73], s[44:45], v[171:172]
	s_delay_alu instid0(VALU_DEP_3) | instskip(SKIP_3) | instid1(VALU_DEP_2)
	v_add_f64_e32 v[26:27], v[74:75], v[26:27]
	scratch_load_b64 v[74:75], off, off offset:272 th:TH_LOAD_LU ; 8-byte Folded Reload
	v_add_f64_e32 v[76:77], v[78:79], v[76:77]
	v_mul_f64_e32 v[78:79], s[36:37], v[147:148]
	v_add_f64_e32 v[24:25], v[76:77], v[24:25]
	s_delay_alu instid0(VALU_DEP_2)
	v_add_f64_e64 v[78:79], v[78:79], -v[80:81]
	v_mul_f64_e32 v[80:81], s[30:31], v[159:160]
	scratch_load_b64 v[76:77], off, off offset:104 th:TH_LOAD_LU ; 8-byte Folded Reload
	v_add_f64_e32 v[26:27], v[78:79], v[26:27]
	v_add_f64_e32 v[80:81], v[80:81], v[205:206]
	scratch_load_b64 v[78:79], off, off offset:136 th:TH_LOAD_LU ; 8-byte Folded Reload
	v_add_f64_e32 v[24:25], v[80:81], v[24:25]
	s_wait_loadcnt 0x4
	v_add_f64_e64 v[64:65], v[66:67], -v[64:65]
	s_wait_loadcnt 0x3
	v_add_f64_e64 v[82:83], v[84:85], -v[82:83]
	v_mul_f64_e32 v[84:85], s[22:23], v[167:168]
	v_mul_f64_e32 v[66:67], s[14:15], v[175:176]
	s_delay_alu instid0(VALU_DEP_3) | instskip(NEXT) | instid1(VALU_DEP_3)
	v_add_f64_e32 v[26:27], v[82:83], v[26:27]
	v_add_f64_e32 v[84:85], v[84:85], v[207:208]
	s_delay_alu instid0(VALU_DEP_3)
	v_add_f64_e32 v[66:67], v[66:67], v[209:210]
	scratch_load_b64 v[82:83], off, off offset:152 th:TH_LOAD_LU ; 8-byte Folded Reload
	v_add_f64_e32 v[26:27], v[64:65], v[26:27]
	v_add_f64_e32 v[24:25], v[84:85], v[24:25]
	scratch_load_b64 v[84:85], off, off offset:144 th:TH_LOAD_LU ; 8-byte Folded Reload
	s_wait_loadcnt 0x4
	v_add_f64_e64 v[72:73], v[74:75], -v[72:73]
	v_mul_f64_e32 v[74:75], s[10:11], v[183:184]
	v_mul_f64_e32 v[64:65], s[46:47], v[179:180]
	scratch_load_b64 v[80:81], off, off offset:128 th:TH_LOAD_LU ; 8-byte Folded Reload
	v_add_f64_e32 v[24:25], v[66:67], v[24:25]
	v_add_f64_e32 v[66:67], v[72:73], v[26:27]
	;; [unrolled: 1-line block ×3, first 2 shown]
	v_add_f64_e64 v[64:65], v[203:204], -v[64:65]
	scratch_load_b64 v[72:73], off, off offset:64 th:TH_LOAD_LU ; 8-byte Folded Reload
	v_add_f64_e32 v[26:27], v[74:75], v[24:25]
	v_add_f64_e32 v[24:25], v[64:65], v[66:67]
	s_clause 0x1
	scratch_load_b64 v[66:67], off, off offset:80 th:TH_LOAD_LU
	scratch_load_b64 v[74:75], off, off offset:112 th:TH_LOAD_LU
	v_mul_f64_e32 v[64:65], s[6:7], v[127:128]
	s_wait_loadcnt 0x1
	s_delay_alu instid0(VALU_DEP_1) | instskip(SKIP_1) | instid1(VALU_DEP_2)
	v_add_f64_e32 v[64:65], v[66:67], v[64:65]
	v_mul_f64_e32 v[66:67], s[6:7], v[123:124]
	v_add_f64_e32 v[64:65], v[64:65], v[68:69]
	s_delay_alu instid0(VALU_DEP_2) | instskip(SKIP_2) | instid1(VALU_DEP_3)
	v_add_f64_e64 v[66:67], v[66:67], -v[72:73]
	v_mul_f64_e32 v[72:73], s[14:15], v[139:140]
	v_mul_f64_e32 v[68:69], s[24:25], v[163:164]
	v_add_f64_e32 v[66:67], v[66:67], v[70:71]
	s_wait_loadcnt 0x0
	s_delay_alu instid0(VALU_DEP_3)
	v_add_f64_e32 v[72:73], v[74:75], v[72:73]
	v_mul_f64_e32 v[74:75], s[14:15], v[135:136]
	scratch_load_b64 v[70:71], off, off offset:160 th:TH_LOAD_LU ; 8-byte Folded Reload
	v_add_f64_e32 v[64:65], v[72:73], v[64:65]
	v_add_f64_e64 v[74:75], v[74:75], -v[76:77]
	v_mul_f64_e32 v[76:77], s[16:17], v[151:152]
	scratch_load_b64 v[72:73], off, off offset:184 th:TH_LOAD_LU ; 8-byte Folded Reload
	v_add_f64_e32 v[66:67], v[74:75], v[66:67]
	v_add_f64_e32 v[76:77], v[78:79], v[76:77]
	v_mul_f64_e32 v[78:79], s[16:17], v[147:148]
	s_delay_alu instid0(VALU_DEP_2)
	v_add_f64_e32 v[64:65], v[76:77], v[64:65]
	s_clause 0x1
	scratch_load_b64 v[76:77], off, off offset:200 th:TH_LOAD_LU
	scratch_load_b64 v[74:75], off, off offset:176 th:TH_LOAD_LU
	v_add_f64_e64 v[78:79], v[78:79], -v[80:81]
	v_mul_f64_e32 v[80:81], s[22:23], v[159:160]
	s_delay_alu instid0(VALU_DEP_2) | instskip(NEXT) | instid1(VALU_DEP_2)
	v_add_f64_e32 v[66:67], v[78:79], v[66:67]
	v_add_f64_e32 v[80:81], v[80:81], v[82:83]
	v_mul_f64_e32 v[82:83], s[20:21], v[155:156]
	s_delay_alu instid0(VALU_DEP_2) | instskip(NEXT) | instid1(VALU_DEP_2)
	v_add_f64_e32 v[64:65], v[80:81], v[64:65]
	v_add_f64_e64 v[82:83], v[84:85], -v[82:83]
	v_mul_f64_e32 v[84:85], s[26:27], v[167:168]
	s_delay_alu instid0(VALU_DEP_2) | instskip(NEXT) | instid1(VALU_DEP_2)
	v_add_f64_e32 v[66:67], v[82:83], v[66:67]
	v_add_f64_e32 v[84:85], v[84:85], v[86:87]
	s_delay_alu instid0(VALU_DEP_1) | instskip(SKIP_3) | instid1(VALU_DEP_2)
	v_add_f64_e32 v[64:65], v[84:85], v[64:65]
	s_wait_loadcnt 0x3
	v_add_f64_e64 v[68:69], v[70:71], -v[68:69]
	v_mul_f64_e32 v[70:71], s[30:31], v[175:176]
	v_add_f64_e32 v[66:67], v[68:69], v[66:67]
	s_wait_loadcnt 0x2
	s_delay_alu instid0(VALU_DEP_2) | instskip(SKIP_2) | instid1(VALU_DEP_3)
	v_add_f64_e32 v[70:71], v[70:71], v[72:73]
	v_mul_f64_e32 v[72:73], s[28:29], v[171:172]
	v_mul_f64_e32 v[68:69], s[34:35], v[179:180]
	v_add_f64_e32 v[64:65], v[70:71], v[64:65]
	s_wait_loadcnt 0x0
	s_delay_alu instid0(VALU_DEP_3) | instskip(SKIP_1) | instid1(VALU_DEP_2)
	v_add_f64_e64 v[72:73], v[74:75], -v[72:73]
	v_mul_f64_e32 v[74:75], s[36:37], v[183:184]
	v_add_f64_e32 v[70:71], v[72:73], v[66:67]
	s_delay_alu instid0(VALU_DEP_2) | instskip(SKIP_4) | instid1(VALU_DEP_1)
	v_add_f64_e32 v[74:75], v[74:75], v[76:77]
	scratch_load_b64 v[76:77], off, off offset:192 th:TH_LOAD_LU ; 8-byte Folded Reload
	v_add_f64_e32 v[66:67], v[74:75], v[64:65]
	s_wait_loadcnt 0x0
	v_add_f64_e64 v[68:69], v[76:77], -v[68:69]
	v_add_f64_e32 v[64:65], v[68:69], v[70:71]
	v_and_b32_e32 v68, 0xffff, v121
	s_delay_alu instid0(VALU_DEP_1)
	v_add_lshl_u32 v68, v150, v68, 4
	ds_store_b128 v68, v[24:27] offset:32
	ds_store_b128 v68, v[16:19] offset:48
	;; [unrolled: 1-line block ×3, first 2 shown]
	ds_store_b128 v68, v[20:23]
	ds_store_b128 v68, v[12:15] offset:64
	ds_store_b128 v68, v[32:35] offset:80
	;; [unrolled: 1-line block ×13, first 2 shown]
.LBB0_7:
	s_or_b32 exec_lo, exec_lo, s33
	v_mad_co_u64_u32 v[16:17], null, v120, 48, s[0:1]
	s_load_b128 s[0:3], s[2:3], 0x0
	global_wb scope:SCOPE_SE
	s_wait_dscnt 0x0
	s_wait_kmcnt 0x0
	s_barrier_signal -1
	s_barrier_wait -1
	global_inv scope:SCOPE_SE
	v_add_lshl_u32 v97, v150, v120, 4
	s_clause 0x2
	global_load_b128 v[24:27], v[16:17], off
	global_load_b128 v[20:23], v[16:17], off offset:16
	global_load_b128 v[190:193], v[16:17], off offset:32
	ds_load_b128 v[64:67], v97 offset:272
	ds_load_b128 v[68:71], v97 offset:544
	;; [unrolled: 1-line block ×3, first 2 shown]
	scratch_load_b32 v16, off, off offset:12 ; 4-byte Folded Reload
	s_wait_loadcnt_dscnt 0x302
	v_mul_f64_e32 v[76:77], v[66:67], v[26:27]
	v_mul_f64_e32 v[78:79], v[64:65], v[26:27]
	s_wait_loadcnt_dscnt 0x201
	v_mul_f64_e32 v[80:81], v[70:71], v[22:23]
	v_mul_f64_e32 v[82:83], v[68:69], v[22:23]
	;; [unrolled: 3-line block ×3, first 2 shown]
	s_wait_loadcnt 0x0
	v_lshl_add_u32 v96, v120, 4, v16
	v_fma_f64 v[76:77], v[64:65], v[24:25], -v[76:77]
	v_fma_f64 v[78:79], v[66:67], v[24:25], v[78:79]
	v_fma_f64 v[68:69], v[68:69], v[20:21], -v[80:81]
	v_fma_f64 v[70:71], v[70:71], v[20:21], v[82:83]
	;; [unrolled: 2-line block ×3, first 2 shown]
	ds_load_b128 v[64:67], v97
	s_wait_dscnt 0x0
	v_add_f64_e64 v[68:69], v[64:65], -v[68:69]
	v_add_f64_e64 v[70:71], v[66:67], -v[70:71]
	;; [unrolled: 1-line block ×4, first 2 shown]
	s_delay_alu instid0(VALU_DEP_4) | instskip(NEXT) | instid1(VALU_DEP_4)
	v_fma_f64 v[64:65], v[64:65], 2.0, -v[68:69]
	v_fma_f64 v[66:67], v[66:67], 2.0, -v[70:71]
	s_delay_alu instid0(VALU_DEP_4) | instskip(NEXT) | instid1(VALU_DEP_4)
	v_fma_f64 v[74:75], v[76:77], 2.0, -v[80:81]
	v_fma_f64 v[78:79], v[78:79], 2.0, -v[72:73]
	v_add_f64_e64 v[76:77], v[68:69], -v[72:73]
	s_delay_alu instid0(VALU_DEP_3) | instskip(NEXT) | instid1(VALU_DEP_3)
	v_add_f64_e64 v[72:73], v[64:65], -v[74:75]
	v_add_f64_e64 v[74:75], v[66:67], -v[78:79]
	v_add_f64_e32 v[78:79], v[70:71], v[80:81]
	s_delay_alu instid0(VALU_DEP_4) | instskip(NEXT) | instid1(VALU_DEP_4)
	v_fma_f64 v[68:69], v[68:69], 2.0, -v[76:77]
	v_fma_f64 v[64:65], v[64:65], 2.0, -v[72:73]
	s_delay_alu instid0(VALU_DEP_4) | instskip(NEXT) | instid1(VALU_DEP_4)
	v_fma_f64 v[66:67], v[66:67], 2.0, -v[74:75]
	v_fma_f64 v[70:71], v[70:71], 2.0, -v[78:79]
	ds_store_b128 v96, v[72:75] offset:544
	ds_store_b128 v96, v[76:79] offset:816
	ds_store_b128 v96, v[64:67]
	ds_store_b128 v96, v[68:71] offset:272
	global_wb scope:SCOPE_SE
	s_wait_dscnt 0x0
	s_barrier_signal -1
	s_barrier_wait -1
	global_inv scope:SCOPE_SE
	s_and_saveexec_b32 s6, vcc_lo
	s_cbranch_execz .LBB0_9
; %bb.8:
	s_add_nc_u64 s[4:5], s[8:9], 0x440
	s_clause 0x5
	global_load_b128 v[88:91], v149, s[8:9] offset:1088
	global_load_b128 v[80:83], v149, s[4:5] offset:64
	;; [unrolled: 1-line block ×6, first 2 shown]
	scratch_load_b32 v16, off, off          ; 4-byte Folded Reload
	s_wait_loadcnt 0x0
	ds_load_b128 v[106:109], v16
	s_wait_dscnt 0x0
	v_mul_f64_e32 v[110:111], v[108:109], v[90:91]
	v_mul_f64_e32 v[90:91], v[106:107], v[90:91]
	s_delay_alu instid0(VALU_DEP_2) | instskip(NEXT) | instid1(VALU_DEP_2)
	v_fma_f64 v[106:107], v[106:107], v[88:89], -v[110:111]
	v_fma_f64 v[108:109], v[108:109], v[88:89], v[90:91]
	ds_store_b128 v16, v[106:109]
	ds_load_b128 v[88:91], v96 offset:64
	ds_load_b128 v[106:109], v96 offset:128
	s_wait_dscnt 0x1
	v_mul_f64_e32 v[110:111], v[90:91], v[82:83]
	v_mul_f64_e32 v[82:83], v[88:89], v[82:83]
	s_wait_dscnt 0x0
	v_mul_f64_e32 v[114:115], v[108:109], v[86:87]
	v_mul_f64_e32 v[116:117], v[106:107], v[86:87]
	s_delay_alu instid0(VALU_DEP_4) | instskip(NEXT) | instid1(VALU_DEP_4)
	v_fma_f64 v[86:87], v[88:89], v[80:81], -v[110:111]
	v_fma_f64 v[88:89], v[90:91], v[80:81], v[82:83]
	ds_load_b128 v[80:83], v96 offset:192
	ds_load_b128 v[110:113], v96 offset:256
	v_fma_f64 v[106:107], v[106:107], v[84:85], -v[114:115]
	v_fma_f64 v[108:109], v[108:109], v[84:85], v[116:117]
	ds_load_b128 v[114:117], v96 offset:320
	s_wait_dscnt 0x2
	v_mul_f64_e32 v[90:91], v[82:83], v[94:95]
	v_mul_f64_e32 v[84:85], v[80:81], v[94:95]
	s_wait_dscnt 0x1
	v_mul_f64_e32 v[94:95], v[112:113], v[100:101]
	v_mul_f64_e32 v[100:101], v[110:111], v[100:101]
	s_delay_alu instid0(VALU_DEP_4) | instskip(NEXT) | instid1(VALU_DEP_4)
	v_fma_f64 v[80:81], v[80:81], v[92:93], -v[90:91]
	v_fma_f64 v[82:83], v[82:83], v[92:93], v[84:85]
	global_load_b128 v[90:93], v149, s[4:5] offset:384
	v_fma_f64 v[110:111], v[110:111], v[98:99], -v[94:95]
	v_fma_f64 v[112:113], v[112:113], v[98:99], v[100:101]
	ds_load_b128 v[98:101], v96 offset:384
	s_wait_dscnt 0x1
	v_mul_f64_e32 v[84:85], v[116:117], v[104:105]
	v_mul_f64_e32 v[94:95], v[114:115], v[104:105]
	s_delay_alu instid0(VALU_DEP_2) | instskip(NEXT) | instid1(VALU_DEP_2)
	v_fma_f64 v[114:115], v[114:115], v[102:103], -v[84:85]
	v_fma_f64 v[116:117], v[116:117], v[102:103], v[94:95]
	global_load_b128 v[102:105], v149, s[4:5] offset:448
	s_wait_loadcnt_dscnt 0x100
	v_mul_f64_e32 v[84:85], v[100:101], v[92:93]
	v_mul_f64_e32 v[94:95], v[98:99], v[92:93]
	s_delay_alu instid0(VALU_DEP_2) | instskip(NEXT) | instid1(VALU_DEP_2)
	v_fma_f64 v[92:93], v[98:99], v[90:91], -v[84:85]
	v_fma_f64 v[94:95], v[100:101], v[90:91], v[94:95]
	ds_load_b128 v[98:101], v96 offset:448
	ds_load_b128 v[122:125], v96 offset:512
	s_wait_loadcnt_dscnt 0x1
	v_mul_f64_e32 v[84:85], v[100:101], v[104:105]
	v_mul_f64_e32 v[90:91], v[98:99], v[104:105]
	s_delay_alu instid0(VALU_DEP_2) | instskip(NEXT) | instid1(VALU_DEP_2)
	v_fma_f64 v[98:99], v[98:99], v[102:103], -v[84:85]
	v_fma_f64 v[100:101], v[100:101], v[102:103], v[90:91]
	s_clause 0x1
	global_load_b128 v[102:105], v149, s[4:5] offset:512
	global_load_b128 v[126:129], v149, s[4:5] offset:576
	s_wait_loadcnt_dscnt 0x100
	v_mul_f64_e32 v[84:85], v[124:125], v[104:105]
	v_mul_f64_e32 v[90:91], v[122:123], v[104:105]
	s_delay_alu instid0(VALU_DEP_2) | instskip(NEXT) | instid1(VALU_DEP_2)
	v_fma_f64 v[122:123], v[122:123], v[102:103], -v[84:85]
	v_fma_f64 v[124:125], v[124:125], v[102:103], v[90:91]
	ds_load_b128 v[102:105], v96 offset:576
	ds_load_b128 v[130:133], v96 offset:640
	s_wait_loadcnt_dscnt 0x1
	v_mul_f64_e32 v[84:85], v[104:105], v[128:129]
	v_mul_f64_e32 v[90:91], v[102:103], v[128:129]
	s_delay_alu instid0(VALU_DEP_2) | instskip(NEXT) | instid1(VALU_DEP_2)
	v_fma_f64 v[102:103], v[102:103], v[126:127], -v[84:85]
	v_fma_f64 v[104:105], v[104:105], v[126:127], v[90:91]
	s_clause 0x1
	global_load_b128 v[126:129], v149, s[4:5] offset:640
	global_load_b128 v[134:137], v149, s[4:5] offset:704
	ds_load_b128 v[138:141], v96 offset:704
	ds_load_b128 v[142:145], v96 offset:768
	s_wait_loadcnt_dscnt 0x102
	v_mul_f64_e32 v[84:85], v[132:133], v[128:129]
	v_mul_f64_e32 v[90:91], v[130:131], v[128:129]
	s_delay_alu instid0(VALU_DEP_2) | instskip(SKIP_2) | instid1(VALU_DEP_3)
	v_fma_f64 v[128:129], v[130:131], v[126:127], -v[84:85]
	s_wait_loadcnt_dscnt 0x1
	v_mul_f64_e32 v[84:85], v[140:141], v[136:137]
	v_fma_f64 v[130:131], v[132:133], v[126:127], v[90:91]
	v_mul_f64_e32 v[90:91], v[138:139], v[136:137]
	s_delay_alu instid0(VALU_DEP_3)
	v_fma_f64 v[132:133], v[138:139], v[134:135], -v[84:85]
	s_clause 0x1
	global_load_b128 v[136:139], v149, s[4:5] offset:768
	global_load_b128 v[150:153], v149, s[4:5] offset:832
	v_fma_f64 v[134:135], v[140:141], v[134:135], v[90:91]
	s_wait_loadcnt_dscnt 0x100
	v_mul_f64_e32 v[84:85], v[144:145], v[138:139]
	v_mul_f64_e32 v[90:91], v[142:143], v[138:139]
	s_delay_alu instid0(VALU_DEP_2) | instskip(NEXT) | instid1(VALU_DEP_2)
	v_fma_f64 v[138:139], v[142:143], v[136:137], -v[84:85]
	v_fma_f64 v[140:141], v[144:145], v[136:137], v[90:91]
	ds_load_b128 v[142:145], v96 offset:832
	ds_load_b128 v[154:157], v96 offset:896
	s_wait_loadcnt_dscnt 0x1
	v_mul_f64_e32 v[84:85], v[144:145], v[152:153]
	v_mul_f64_e32 v[90:91], v[142:143], v[152:153]
	s_delay_alu instid0(VALU_DEP_2) | instskip(NEXT) | instid1(VALU_DEP_2)
	v_fma_f64 v[142:143], v[142:143], v[150:151], -v[84:85]
	v_fma_f64 v[144:145], v[144:145], v[150:151], v[90:91]
	s_clause 0x1
	global_load_b128 v[150:153], v149, s[4:5] offset:896
	global_load_b128 v[158:161], v149, s[4:5] offset:960
	ds_load_b128 v[162:165], v96 offset:960
	ds_load_b128 v[166:169], v96 offset:1024
	s_wait_loadcnt_dscnt 0x102
	v_mul_f64_e32 v[84:85], v[156:157], v[152:153]
	v_mul_f64_e32 v[90:91], v[154:155], v[152:153]
	s_delay_alu instid0(VALU_DEP_2) | instskip(SKIP_2) | instid1(VALU_DEP_3)
	v_fma_f64 v[152:153], v[154:155], v[150:151], -v[84:85]
	s_wait_loadcnt_dscnt 0x1
	v_mul_f64_e32 v[84:85], v[164:165], v[160:161]
	v_fma_f64 v[154:155], v[156:157], v[150:151], v[90:91]
	v_mul_f64_e32 v[90:91], v[162:163], v[160:161]
	s_delay_alu instid0(VALU_DEP_3)
	v_fma_f64 v[156:157], v[162:163], v[158:159], -v[84:85]
	global_load_b128 v[160:163], v149, s[4:5] offset:1024
	v_fma_f64 v[158:159], v[164:165], v[158:159], v[90:91]
	s_wait_loadcnt_dscnt 0x0
	v_mul_f64_e32 v[84:85], v[168:169], v[162:163]
	v_mul_f64_e32 v[90:91], v[166:167], v[162:163]
	s_delay_alu instid0(VALU_DEP_2) | instskip(NEXT) | instid1(VALU_DEP_2)
	v_fma_f64 v[162:163], v[166:167], v[160:161], -v[84:85]
	v_fma_f64 v[164:165], v[168:169], v[160:161], v[90:91]
	ds_store_b128 v96, v[86:89] offset:64
	ds_store_b128 v96, v[106:109] offset:128
	;; [unrolled: 1-line block ×16, first 2 shown]
.LBB0_9:
	s_wait_alu 0xfffe
	s_or_b32 exec_lo, exec_lo, s6
	global_wb scope:SCOPE_SE
	s_wait_dscnt 0x0
	s_barrier_signal -1
	s_barrier_wait -1
	global_inv scope:SCOPE_SE
	s_and_saveexec_b32 s4, vcc_lo
	s_cbranch_execz .LBB0_11
; %bb.10:
	scratch_load_b32 v0, off, off           ; 4-byte Folded Reload
	s_wait_loadcnt 0x0
	ds_load_b128 v[64:67], v0
	ds_load_b128 v[68:71], v96 offset:64
	ds_load_b128 v[72:75], v96 offset:128
	;; [unrolled: 1-line block ×16, first 2 shown]
.LBB0_11:
	s_wait_alu 0xfffe
	s_or_b32 exec_lo, exec_lo, s4
	global_wb scope:SCOPE_SE
	s_wait_dscnt 0x0
	s_barrier_signal -1
	s_barrier_wait -1
	global_inv scope:SCOPE_SE
	s_and_saveexec_b32 s33, vcc_lo
	s_cbranch_execz .LBB0_13
; %bb.12:
	v_add_f64_e32 v[82:83], v[64:65], v[68:69]
	v_add_f64_e32 v[80:81], v[66:67], v[70:71]
	;; [unrolled: 1-line block ×3, first 2 shown]
	v_add_f64_e64 v[92:93], v[76:77], -v[8:9]
	v_add_f64_e64 v[94:95], v[72:73], -v[4:5]
	s_mov_b32 s40, 0x6c9a05f6
	s_mov_b32 s41, 0xbfe9895b
	;; [unrolled: 1-line block ×11, first 2 shown]
	s_wait_alu 0xfffe
	s_mov_b32 s44, s30
	s_mov_b32 s22, 0x3259b75e
	;; [unrolled: 1-line block ×6, first 2 shown]
	s_wait_alu 0xfffe
	s_mov_b32 s20, s42
	s_mov_b32 s52, 0x2a9d6da3
	;; [unrolled: 1-line block ×5, first 2 shown]
	s_wait_alu 0xfffe
	s_mov_b32 s38, s52
	s_mov_b32 s27, 0x3fdc86fa
	;; [unrolled: 1-line block ×11, first 2 shown]
	v_add_f64_e32 v[82:83], v[72:73], v[82:83]
	v_add_f64_e32 v[80:81], v[74:75], v[80:81]
	s_wait_alu 0xfffe
	s_mov_b32 s16, s36
	s_mov_b32 s10, 0x910ea3b9
	;; [unrolled: 1-line block ×9, first 2 shown]
	v_mul_f64_e32 v[170:171], s[22:23], v[84:85]
	s_mov_b32 s55, 0x3fc7851a
	s_mov_b32 s54, s48
	;; [unrolled: 1-line block ×4, first 2 shown]
	v_mul_f64_e32 v[174:175], s[26:27], v[84:85]
	s_wait_alu 0xfffe
	v_mul_f64_e32 v[202:203], s[4:5], v[84:85]
	v_mul_f64_e32 v[204:205], s[44:45], v[94:95]
	;; [unrolled: 1-line block ×3, first 2 shown]
	s_mov_b32 s57, 0x3fe0d888
	s_mov_b32 s56, s24
	v_mul_f64_e32 v[230:231], s[34:35], v[84:85]
	v_mul_f64_e32 v[232:233], s[40:41], v[94:95]
	v_add_f64_e32 v[82:83], v[76:77], v[82:83]
	v_add_f64_e32 v[80:81], v[78:79], v[80:81]
	s_delay_alu instid0(VALU_DEP_2) | instskip(NEXT) | instid1(VALU_DEP_2)
	v_add_f64_e32 v[82:83], v[12:13], v[82:83]
	v_add_f64_e32 v[80:81], v[14:15], v[80:81]
	s_delay_alu instid0(VALU_DEP_2) | instskip(NEXT) | instid1(VALU_DEP_2)
	v_add_f64_e32 v[82:83], v[32:33], v[82:83]
	v_add_f64_e32 v[80:81], v[34:35], v[80:81]
	s_delay_alu instid0(VALU_DEP_2) | instskip(NEXT) | instid1(VALU_DEP_2)
	v_add_f64_e32 v[82:83], v[40:41], v[82:83]
	v_add_f64_e32 v[80:81], v[42:43], v[80:81]
	s_delay_alu instid0(VALU_DEP_2) | instskip(NEXT) | instid1(VALU_DEP_2)
	v_add_f64_e32 v[82:83], v[48:49], v[82:83]
	v_add_f64_e32 v[80:81], v[50:51], v[80:81]
	s_delay_alu instid0(VALU_DEP_2) | instskip(NEXT) | instid1(VALU_DEP_2)
	v_add_f64_e32 v[88:89], v[56:57], v[82:83]
	v_add_f64_e32 v[86:87], v[58:59], v[80:81]
	v_add_f64_e64 v[82:83], v[56:57], -v[60:61]
	v_add_f64_e32 v[80:81], v[62:63], v[58:59]
	v_add_f64_e64 v[56:57], v[58:59], -v[62:63]
	v_add_f64_e32 v[58:59], v[54:55], v[50:51]
	v_add_f64_e32 v[88:89], v[60:61], v[88:89]
	;; [unrolled: 1-line block ×3, first 2 shown]
	v_add_f64_e64 v[62:63], v[48:49], -v[52:53]
	v_add_f64_e32 v[60:61], v[52:53], v[48:49]
	v_add_f64_e64 v[48:49], v[50:51], -v[54:55]
	v_add_f64_e32 v[50:51], v[46:47], v[42:43]
	v_mul_f64_e32 v[168:169], s[30:31], v[82:83]
	v_mul_f64_e32 v[172:173], s[42:43], v[82:83]
	;; [unrolled: 1-line block ×5, first 2 shown]
	v_add_f64_e32 v[88:89], v[52:53], v[88:89]
	v_add_f64_e32 v[86:87], v[54:55], v[86:87]
	v_add_f64_e64 v[54:55], v[40:41], -v[44:45]
	v_add_f64_e32 v[52:53], v[44:45], v[40:41]
	v_add_f64_e64 v[40:41], v[42:43], -v[46:47]
	v_add_f64_e32 v[42:43], v[38:39], v[34:35]
	v_mul_f64_e32 v[196:197], s[24:25], v[62:63]
	v_mul_f64_e32 v[198:199], s[10:11], v[60:61]
	v_mul_f64_e32 v[224:225], s[42:43], v[62:63]
	v_mul_f64_e32 v[226:227], s[26:27], v[60:61]
	v_mul_f64_e32 v[250:251], s[44:45], v[62:63]
	v_mul_f64_e32 v[252:253], s[22:23], v[60:61]
	v_mul_f64_e32 v[182:183], s[46:47], v[62:63]
	v_mul_f64_e32 v[184:185], s[14:15], v[60:61]
	v_mul_f64_e32 v[188:189], s[34:35], v[60:61]
	v_add_f64_e32 v[44:45], v[44:45], v[88:89]
	v_add_f64_e32 v[90:91], v[46:47], v[86:87]
	v_add_f64_e64 v[86:87], v[32:33], -v[36:37]
	v_add_f64_e32 v[46:47], v[36:37], v[32:33]
	v_add_f64_e64 v[32:33], v[34:35], -v[38:39]
	v_add_f64_e64 v[88:89], v[12:13], -v[28:29]
	v_add_f64_e32 v[34:35], v[12:13], v[28:29]
	v_mul_f64_e32 v[194:195], s[14:15], v[52:53]
	v_mul_f64_e32 v[220:221], s[50:51], v[54:55]
	;; [unrolled: 1-line block ×6, first 2 shown]
	v_add_f64_e32 v[44:45], v[36:37], v[44:45]
	v_add_f64_e32 v[38:39], v[38:39], v[90:91]
	;; [unrolled: 1-line block ×3, first 2 shown]
	v_add_f64_e64 v[90:91], v[14:15], -v[30:31]
	s_wait_alu 0xfffe
	v_mul_f64_e32 v[216:217], s[56:57], v[86:87]
	v_mul_f64_e32 v[212:213], s[48:49], v[88:89]
	;; [unrolled: 1-line block ×8, first 2 shown]
	v_add_f64_e32 v[14:15], v[28:29], v[44:45]
	v_add_f64_e32 v[12:13], v[30:31], v[38:39]
	;; [unrolled: 1-line block ×4, first 2 shown]
	v_add_f64_e64 v[78:79], v[78:79], -v[10:11]
	v_add_f64_e32 v[44:45], v[4:5], v[72:73]
	v_add_f64_e64 v[76:77], v[74:75], -v[6:7]
	v_add_f64_e32 v[38:39], v[6:7], v[74:75]
	v_mul_f64_e32 v[18:19], s[44:45], v[90:91]
	v_mul_f64_e32 v[214:215], s[48:49], v[90:91]
	;; [unrolled: 1-line block ×4, first 2 shown]
	v_add_f64_e32 v[8:9], v[8:9], v[14:15]
	v_add_f64_e32 v[10:11], v[10:11], v[12:13]
	;; [unrolled: 1-line block ×4, first 2 shown]
	v_mul_f64_e32 v[210:211], s[40:41], v[78:79]
	v_mul_f64_e32 v[236:237], s[54:55], v[78:79]
	;; [unrolled: 1-line block ×4, first 2 shown]
	v_add_f64_e32 v[4:5], v[4:5], v[8:9]
	v_add_f64_e64 v[8:9], v[68:69], -v[0:1]
	v_add_f64_e32 v[6:7], v[6:7], v[10:11]
	v_add_f64_e64 v[10:11], v[70:71], -v[2:3]
	s_delay_alu instid0(VALU_DEP_4) | instskip(NEXT) | instid1(VALU_DEP_4)
	v_add_f64_e32 v[0:1], v[0:1], v[4:5]
	v_mul_f64_e32 v[68:69], s[40:41], v[8:9]
	s_delay_alu instid0(VALU_DEP_4) | instskip(NEXT) | instid1(VALU_DEP_4)
	v_add_f64_e32 v[2:3], v[2:3], v[6:7]
	v_mul_f64_e32 v[118:119], s[40:41], v[10:11]
	v_mul_f64_e32 v[70:71], s[6:7], v[8:9]
	;; [unrolled: 1-line block ×13, first 2 shown]
	v_fma_f64 v[104:105], v[12:13], s[14:15], v[68:69]
	v_fma_f64 v[68:69], v[12:13], s[14:15], -v[68:69]
	scratch_store_b128 off, v[0:3], off offset:64 ; 16-byte Folded Spill
	v_fma_f64 v[134:135], v[14:15], s[14:15], -v[118:119]
	v_fma_f64 v[118:119], v[14:15], s[14:15], v[118:119]
	v_fma_f64 v[106:107], v[12:13], s[18:19], v[70:71]
	v_fma_f64 v[136:137], v[14:15], s[18:19], -v[122:123]
	v_fma_f64 v[108:109], v[12:13], s[22:23], v[72:73]
	v_fma_f64 v[138:139], v[14:15], s[22:23], -v[124:125]
	;; [unrolled: 2-line block ×3, first 2 shown]
	v_fma_f64 v[112:113], v[12:13], s[28:29], -v[98:99]
	v_fma_f64 v[98:99], v[12:13], s[28:29], v[98:99]
	v_fma_f64 v[142:143], v[14:15], s[28:29], v[128:129]
	v_fma_f64 v[128:129], v[14:15], s[28:29], -v[128:129]
	v_fma_f64 v[100:101], v[12:13], s[4:5], v[4:5]
	v_fma_f64 v[4:5], v[12:13], s[4:5], -v[4:5]
	;; [unrolled: 2-line block ×3, first 2 shown]
	v_fma_f64 v[70:71], v[12:13], s[18:19], -v[70:71]
	v_fma_f64 v[72:73], v[12:13], s[22:23], -v[72:73]
	;; [unrolled: 1-line block ×3, first 2 shown]
	v_fma_f64 v[74:75], v[12:13], s[26:27], v[74:75]
	v_fma_f64 v[114:115], v[12:13], s[34:35], -v[8:9]
	v_fma_f64 v[8:9], v[12:13], s[34:35], v[8:9]
	v_mul_f64_e32 v[12:13], s[48:49], v[10:11]
	v_mul_f64_e32 v[10:11], s[16:17], v[10:11]
	v_fma_f64 v[132:133], v[14:15], s[10:11], -v[116:117]
	v_fma_f64 v[116:117], v[14:15], s[10:11], v[116:117]
	v_fma_f64 v[122:123], v[14:15], s[18:19], v[122:123]
	;; [unrolled: 1-line block ×3, first 2 shown]
	v_add_f64_e32 v[104:105], v[66:67], v[104:105]
	v_add_f64_e32 v[0:1], v[66:67], v[68:69]
	;; [unrolled: 1-line block ×9, first 2 shown]
	v_fma_f64 v[130:131], v[14:15], s[4:5], -v[12:13]
	v_fma_f64 v[12:13], v[14:15], s[4:5], v[12:13]
	v_fma_f64 v[144:145], v[14:15], s[34:35], v[10:11]
	v_fma_f64 v[10:11], v[14:15], s[34:35], -v[10:11]
	v_add_f64_e32 v[14:15], v[66:67], v[100:101]
	v_add_f64_e32 v[132:133], v[64:65], v[132:133]
	v_add_f64_e32 v[116:117], v[64:65], v[116:117]
	v_add_f64_e32 v[70:71], v[64:65], v[122:123]
	v_mul_f64_e32 v[122:123], s[20:21], v[92:93]
	v_add_f64_e32 v[124:125], v[64:65], v[124:125]
	scratch_store_b64 off, v[0:1], off offset:176 ; 8-byte Folded Spill
	v_add_f64_e32 v[0:1], v[64:65], v[118:119]
	v_mul_f64_e32 v[118:119], s[20:21], v[78:79]
	v_add_f64_e32 v[100:101], v[64:65], v[130:131]
	v_add_f64_e32 v[130:131], v[66:67], v[4:5]
	;; [unrolled: 1-line block ×3, first 2 shown]
	scratch_store_b64 off, v[0:1], off offset:168 ; 8-byte Folded Spill
	v_add_f64_e32 v[0:1], v[66:67], v[106:107]
	v_add_f64_e32 v[106:107], v[66:67], v[112:113]
	;; [unrolled: 1-line block ×3, first 2 shown]
	scratch_store_b64 off, v[0:1], off offset:160 ; 8-byte Folded Spill
	v_add_f64_e32 v[0:1], v[64:65], v[136:137]
	v_mul_f64_e32 v[136:137], s[38:39], v[94:95]
	scratch_store_b64 off, v[0:1], off offset:152 ; 8-byte Folded Spill
	v_add_f64_e32 v[0:1], v[66:67], v[108:109]
	v_add_f64_e32 v[108:109], v[66:67], v[114:115]
	;; [unrolled: 1-line block ×4, first 2 shown]
	scratch_store_b64 off, v[0:1], off offset:144 ; 8-byte Folded Spill
	v_add_f64_e32 v[0:1], v[64:65], v[138:139]
	v_dual_mov_b32 v139, v97 :: v_dual_mov_b32 v138, v121
	v_mov_b32_e32 v97, v120
	v_mul_f64_e32 v[120:121], s[48:49], v[94:95]
	scratch_store_b64 off, v[0:1], off offset:136 ; 8-byte Folded Spill
	v_add_f64_e32 v[0:1], v[64:65], v[126:127]
	v_mul_f64_e32 v[126:127], s[38:39], v[76:77]
	scratch_store_b64 off, v[0:1], off offset:128 ; 8-byte Folded Spill
	v_add_f64_e32 v[0:1], v[66:67], v[98:99]
	scratch_store_b64 off, v[0:1], off offset:120 ; 8-byte Folded Spill
	v_add_f64_e32 v[0:1], v[64:65], v[128:129]
	;; [unrolled: 2-line block ×3, first 2 shown]
	v_mul_f64_e32 v[8:9], s[36:37], v[94:95]
	v_mul_f64_e32 v[66:67], s[44:45], v[88:89]
	scratch_store_b64 off, v[0:1], off offset:104 ; 8-byte Folded Spill
	v_fma_f64 v[4:5], v[38:39], s[34:35], v[8:9]
	v_add_f64_e32 v[0:1], v[64:65], v[10:11]
	v_mul_f64_e32 v[10:11], s[36:37], v[76:77]
	v_fma_f64 v[8:9], v[38:39], s[34:35], -v[8:9]
	s_delay_alu instid0(VALU_DEP_4) | instskip(SKIP_1) | instid1(VALU_DEP_4)
	v_add_f64_e32 v[4:5], v[4:5], v[14:15]
	v_mul_f64_e32 v[14:15], s[24:25], v[92:93]
	v_fma_f64 v[6:7], v[44:45], s[34:35], -v[10:11]
	v_fma_f64 v[10:11], v[44:45], s[34:35], v[10:11]
	v_add_f64_e32 v[8:9], v[8:9], v[130:131]
	scratch_store_b64 off, v[0:1], off offset:96 ; 8-byte Folded Spill
	v_fma_f64 v[72:73], v[28:29], s[10:11], v[14:15]
	v_add_f64_e32 v[6:7], v[6:7], v[100:101]
	v_add_f64_e32 v[10:11], v[10:11], v[12:13]
	v_fma_f64 v[12:13], v[28:29], s[10:11], -v[14:15]
	v_fma_f64 v[14:15], v[56:57], s[30:31], v[170:171]
	v_add_f64_e32 v[4:5], v[72:73], v[4:5]
	v_mul_f64_e32 v[72:73], s[24:25], v[78:79]
	s_delay_alu instid0(VALU_DEP_4) | instskip(NEXT) | instid1(VALU_DEP_2)
	v_add_f64_e32 v[8:9], v[12:13], v[8:9]
	v_fma_f64 v[74:75], v[30:31], s[10:11], -v[72:73]
	v_fma_f64 v[12:13], v[30:31], s[10:11], v[72:73]
	v_mul_f64_e32 v[72:73], s[42:43], v[94:95]
	s_delay_alu instid0(VALU_DEP_3) | instskip(SKIP_1) | instid1(VALU_DEP_4)
	v_add_f64_e32 v[6:7], v[74:75], v[6:7]
	v_mul_f64_e32 v[74:75], s[52:53], v[88:89]
	v_add_f64_e32 v[10:11], v[12:13], v[10:11]
	s_delay_alu instid0(VALU_DEP_2) | instskip(SKIP_2) | instid1(VALU_DEP_3)
	v_fma_f64 v[98:99], v[36:37], s[28:29], v[74:75]
	v_fma_f64 v[12:13], v[36:37], s[28:29], -v[74:75]
	v_mul_f64_e32 v[74:75], s[42:43], v[76:77]
	v_add_f64_e32 v[4:5], v[98:99], v[4:5]
	v_mul_f64_e32 v[98:99], s[52:53], v[90:91]
	s_delay_alu instid0(VALU_DEP_4) | instskip(NEXT) | instid1(VALU_DEP_2)
	v_add_f64_e32 v[8:9], v[12:13], v[8:9]
	v_fma_f64 v[100:101], v[34:35], s[28:29], -v[98:99]
	v_fma_f64 v[12:13], v[34:35], s[28:29], v[98:99]
	v_mul_f64_e32 v[98:99], s[44:45], v[92:93]
	s_delay_alu instid0(VALU_DEP_3) | instskip(SKIP_1) | instid1(VALU_DEP_4)
	v_add_f64_e32 v[6:7], v[100:101], v[6:7]
	v_mul_f64_e32 v[100:101], s[40:41], v[86:87]
	v_add_f64_e32 v[10:11], v[12:13], v[10:11]
	s_delay_alu instid0(VALU_DEP_2) | instskip(SKIP_3) | instid1(VALU_DEP_4)
	v_fma_f64 v[128:129], v[42:43], s[14:15], v[100:101]
	v_fma_f64 v[12:13], v[42:43], s[14:15], -v[100:101]
	v_fma_f64 v[100:101], v[28:29], s[22:23], v[98:99]
	v_fma_f64 v[98:99], v[28:29], s[22:23], -v[98:99]
	v_add_f64_e32 v[4:5], v[128:129], v[4:5]
	v_mul_f64_e32 v[128:129], s[14:15], v[46:47]
	v_add_f64_e32 v[8:9], v[12:13], v[8:9]
	s_delay_alu instid0(VALU_DEP_2) | instskip(SKIP_1) | instid1(VALU_DEP_2)
	v_fma_f64 v[144:145], v[32:33], s[46:47], v[128:129]
	v_fma_f64 v[12:13], v[32:33], s[40:41], v[128:129]
	v_add_f64_e32 v[6:7], v[144:145], v[6:7]
	v_mul_f64_e32 v[144:145], s[42:43], v[54:55]
	s_delay_alu instid0(VALU_DEP_3) | instskip(NEXT) | instid1(VALU_DEP_2)
	v_add_f64_e32 v[10:11], v[12:13], v[10:11]
	v_fma_f64 v[160:161], v[50:51], s[26:27], v[144:145]
	v_fma_f64 v[12:13], v[50:51], s[26:27], -v[144:145]
	s_delay_alu instid0(VALU_DEP_2) | instskip(SKIP_1) | instid1(VALU_DEP_3)
	v_add_f64_e32 v[4:5], v[160:161], v[4:5]
	v_mul_f64_e32 v[160:161], s[26:27], v[52:53]
	v_add_f64_e32 v[8:9], v[12:13], v[8:9]
	s_delay_alu instid0(VALU_DEP_2) | instskip(SKIP_1) | instid1(VALU_DEP_2)
	v_fma_f64 v[162:163], v[40:41], s[20:21], v[160:161]
	v_fma_f64 v[12:13], v[40:41], s[42:43], v[160:161]
	v_add_f64_e32 v[6:7], v[162:163], v[6:7]
	v_mul_f64_e32 v[162:163], s[6:7], v[62:63]
	s_delay_alu instid0(VALU_DEP_3) | instskip(NEXT) | instid1(VALU_DEP_2)
	v_add_f64_e32 v[10:11], v[12:13], v[10:11]
	v_fma_f64 v[164:165], v[58:59], s[18:19], v[162:163]
	v_fma_f64 v[12:13], v[58:59], s[18:19], -v[162:163]
	s_delay_alu instid0(VALU_DEP_2) | instskip(SKIP_1) | instid1(VALU_DEP_3)
	v_add_f64_e32 v[4:5], v[164:165], v[4:5]
	v_mul_f64_e32 v[164:165], s[18:19], v[60:61]
	v_add_f64_e32 v[8:9], v[12:13], v[8:9]
	s_delay_alu instid0(VALU_DEP_2) | instskip(SKIP_1) | instid1(VALU_DEP_2)
	v_fma_f64 v[12:13], v[48:49], s[6:7], v[164:165]
	v_fma_f64 v[166:167], v[48:49], s[50:51], v[164:165]
	v_add_f64_e32 v[12:13], v[12:13], v[10:11]
	s_delay_alu instid0(VALU_DEP_2)
	v_add_f64_e32 v[166:167], v[166:167], v[6:7]
	v_fma_f64 v[6:7], v[80:81], s[22:23], v[168:169]
	v_fma_f64 v[10:11], v[80:81], s[22:23], -v[168:169]
	v_mul_f64_e32 v[168:169], s[6:7], v[82:83]
	v_add_f64_e32 v[154:155], v[14:15], v[12:13]
	v_fma_f64 v[12:13], v[38:39], s[26:27], v[72:73]
	v_fma_f64 v[14:15], v[44:45], s[26:27], -v[74:75]
	v_fma_f64 v[72:73], v[38:39], s[26:27], -v[72:73]
	v_fma_f64 v[74:75], v[44:45], s[26:27], v[74:75]
	v_add_f64_e32 v[2:3], v[6:7], v[4:5]
	v_fma_f64 v[4:5], v[56:57], s[44:45], v[170:171]
	v_mul_f64_e32 v[170:171], s[18:19], v[84:85]
	v_add_f64_e32 v[156:157], v[10:11], v[8:9]
	v_mul_f64_e32 v[8:9], s[6:7], v[86:87]
	v_fma_f64 v[10:11], v[42:43], s[26:27], -v[178:179]
	v_fma_f64 v[6:7], v[34:35], s[34:35], v[176:177]
	v_add_f64_e32 v[12:13], v[12:13], v[102:103]
	v_add_f64_e32 v[14:15], v[14:15], v[132:133]
	;; [unrolled: 1-line block ×4, first 2 shown]
	v_mul_f64_e32 v[146:147], s[24:25], v[90:91]
	v_add_f64_e32 v[0:1], v[4:5], v[166:167]
	v_mul_f64_e32 v[4:5], s[18:19], v[46:47]
	v_add_f64_e32 v[12:13], v[100:101], v[12:13]
	;; [unrolled: 2-line block ×3, first 2 shown]
	scratch_store_b128 off, v[0:3], off offset:80 ; 16-byte Folded Spill
	v_mul_f64_e32 v[0:1], s[24:25], v[82:83]
	v_mov_b32_e32 v3, v255
	v_mul_f64_e32 v[254:255], s[10:11], v[84:85]
	v_mov_b32_e32 v2, v149
	v_mul_f64_e32 v[148:149], s[50:51], v[78:79]
	v_mul_f64_e32 v[82:83], s[40:41], v[82:83]
	v_fma_f64 v[102:103], v[30:31], s[22:23], -v[100:101]
	v_fma_f64 v[98:99], v[30:31], s[22:23], v[100:101]
	v_fma_f64 v[100:101], v[56:57], s[6:7], v[170:171]
	s_delay_alu instid0(VALU_DEP_3) | instskip(SKIP_1) | instid1(VALU_DEP_4)
	v_add_f64_e32 v[14:15], v[102:103], v[14:15]
	v_mul_f64_e32 v[102:103], s[46:47], v[88:89]
	v_add_f64_e32 v[74:75], v[98:99], v[74:75]
	s_delay_alu instid0(VALU_DEP_2) | instskip(SKIP_1) | instid1(VALU_DEP_2)
	v_fma_f64 v[128:129], v[36:37], s[14:15], v[102:103]
	v_fma_f64 v[98:99], v[36:37], s[14:15], -v[102:103]
	v_add_f64_e32 v[12:13], v[128:129], v[12:13]
	v_mul_f64_e32 v[128:129], s[46:47], v[90:91]
	s_delay_alu instid0(VALU_DEP_3) | instskip(SKIP_1) | instid1(VALU_DEP_3)
	v_add_f64_e32 v[72:73], v[98:99], v[72:73]
	v_mul_f64_e32 v[90:91], s[20:21], v[90:91]
	v_fma_f64 v[130:131], v[34:35], s[14:15], -v[128:129]
	v_fma_f64 v[98:99], v[34:35], s[14:15], v[128:129]
	v_mul_f64_e32 v[128:129], s[50:51], v[94:95]
	s_delay_alu instid0(VALU_DEP_3) | instskip(SKIP_1) | instid1(VALU_DEP_4)
	v_add_f64_e32 v[14:15], v[130:131], v[14:15]
	v_mul_f64_e32 v[130:131], s[16:17], v[86:87]
	v_add_f64_e32 v[74:75], v[98:99], v[74:75]
	s_delay_alu instid0(VALU_DEP_2) | instskip(SKIP_2) | instid1(VALU_DEP_3)
	v_fma_f64 v[132:133], v[42:43], s[34:35], v[130:131]
	v_fma_f64 v[98:99], v[42:43], s[34:35], -v[130:131]
	v_mul_f64_e32 v[130:131], s[50:51], v[76:77]
	v_add_f64_e32 v[12:13], v[132:133], v[12:13]
	v_mul_f64_e32 v[132:133], s[34:35], v[46:47]
	s_delay_alu instid0(VALU_DEP_4) | instskip(NEXT) | instid1(VALU_DEP_2)
	v_add_f64_e32 v[72:73], v[98:99], v[72:73]
	v_fma_f64 v[144:145], v[32:33], s[36:37], v[132:133]
	v_fma_f64 v[98:99], v[32:33], s[16:17], v[132:133]
	v_mul_f64_e32 v[132:133], s[16:17], v[92:93]
	s_delay_alu instid0(VALU_DEP_3) | instskip(SKIP_1) | instid1(VALU_DEP_4)
	v_add_f64_e32 v[14:15], v[144:145], v[14:15]
	v_mul_f64_e32 v[144:145], s[48:49], v[54:55]
	v_add_f64_e32 v[74:75], v[98:99], v[74:75]
	s_delay_alu instid0(VALU_DEP_4) | instskip(NEXT) | instid1(VALU_DEP_3)
	v_fma_f64 v[102:103], v[28:29], s[34:35], v[132:133]
	v_fma_f64 v[160:161], v[50:51], s[4:5], v[144:145]
	v_fma_f64 v[98:99], v[50:51], s[4:5], -v[144:145]
	v_mul_f64_e32 v[144:145], s[24:25], v[88:89]
	v_mul_f64_e32 v[88:89], s[20:21], v[88:89]
	s_delay_alu instid0(VALU_DEP_4) | instskip(SKIP_2) | instid1(VALU_DEP_2)
	v_add_f64_e32 v[12:13], v[160:161], v[12:13]
	v_mul_f64_e32 v[160:161], s[4:5], v[52:53]
	v_add_f64_e32 v[72:73], v[98:99], v[72:73]
	v_fma_f64 v[162:163], v[40:41], s[54:55], v[160:161]
	v_fma_f64 v[98:99], v[40:41], s[48:49], v[160:161]
	v_mul_f64_e32 v[160:161], s[30:31], v[86:87]
	v_mul_f64_e32 v[86:87], s[48:49], v[86:87]
	s_delay_alu instid0(VALU_DEP_4) | instskip(SKIP_2) | instid1(VALU_DEP_2)
	v_add_f64_e32 v[14:15], v[162:163], v[14:15]
	v_mul_f64_e32 v[162:163], s[52:53], v[62:63]
	v_add_f64_e32 v[74:75], v[98:99], v[74:75]
	v_fma_f64 v[164:165], v[58:59], s[28:29], v[162:163]
	v_fma_f64 v[98:99], v[58:59], s[28:29], -v[162:163]
	v_mul_f64_e32 v[162:163], s[22:23], v[46:47]
	s_delay_alu instid0(VALU_DEP_3) | instskip(SKIP_1) | instid1(VALU_DEP_4)
	v_add_f64_e32 v[12:13], v[164:165], v[12:13]
	v_mul_f64_e32 v[164:165], s[28:29], v[60:61]
	v_add_f64_e32 v[72:73], v[98:99], v[72:73]
	s_delay_alu instid0(VALU_DEP_2) | instskip(SKIP_2) | instid1(VALU_DEP_3)
	v_fma_f64 v[98:99], v[48:49], s[52:53], v[164:165]
	v_fma_f64 v[166:167], v[48:49], s[38:39], v[164:165]
	v_mul_f64_e32 v[164:165], s[38:39], v[54:55]
	v_add_f64_e32 v[98:99], v[98:99], v[74:75]
	v_fma_f64 v[74:75], v[80:81], s[18:19], -v[168:169]
	s_delay_alu instid0(VALU_DEP_4) | instskip(SKIP_2) | instid1(VALU_DEP_4)
	v_add_f64_e32 v[166:167], v[166:167], v[14:15]
	v_fma_f64 v[14:15], v[80:81], s[18:19], v[168:169]
	v_mul_f64_e32 v[168:169], s[48:49], v[62:63]
	v_add_f64_e32 v[74:75], v[74:75], v[72:73]
	v_add_f64_e32 v[72:73], v[100:101], v[98:99]
	v_fma_f64 v[98:99], v[38:39], s[18:19], v[128:129]
	v_fma_f64 v[100:101], v[44:45], s[18:19], -v[130:131]
	v_add_f64_e32 v[152:153], v[14:15], v[12:13]
	v_fma_f64 v[12:13], v[56:57], s[50:51], v[170:171]
	v_mul_f64_e32 v[170:171], s[4:5], v[60:61]
	v_fma_f64 v[14:15], v[50:51], s[10:11], -v[180:181]
	v_fma_f64 v[60:61], v[48:49], s[16:17], v[188:189]
	v_add_f64_e32 v[98:99], v[98:99], v[104:105]
	v_add_f64_e32 v[100:101], v[100:101], v[134:135]
	v_mul_f64_e32 v[134:135], s[16:17], v[78:79]
	v_add_f64_e32 v[150:151], v[12:13], v[166:167]
	v_mul_f64_e32 v[166:167], s[28:29], v[52:53]
	v_fma_f64 v[104:105], v[44:45], s[28:29], v[126:127]
	v_mul_f64_e32 v[12:13], s[40:41], v[54:55]
	v_mul_f64_e32 v[78:79], s[52:53], v[78:79]
	v_add_f64_e32 v[98:99], v[102:103], v[98:99]
	v_fma_f64 v[102:103], v[30:31], s[34:35], -v[134:135]
	v_add_f64_e32 v[104:105], v[104:105], v[112:113]
	v_fma_f64 v[112:113], v[28:29], s[14:15], -v[208:209]
	s_delay_alu instid0(VALU_DEP_3) | instskip(SKIP_1) | instid1(VALU_DEP_1)
	v_add_f64_e32 v[100:101], v[102:103], v[100:101]
	v_fma_f64 v[102:103], v[36:37], s[10:11], v[144:145]
	v_add_f64_e32 v[98:99], v[102:103], v[98:99]
	v_fma_f64 v[102:103], v[34:35], s[10:11], -v[146:147]
	s_delay_alu instid0(VALU_DEP_1) | instskip(SKIP_1) | instid1(VALU_DEP_1)
	v_add_f64_e32 v[100:101], v[102:103], v[100:101]
	v_fma_f64 v[102:103], v[42:43], s[22:23], v[160:161]
	v_add_f64_e32 v[98:99], v[102:103], v[98:99]
	v_fma_f64 v[102:103], v[32:33], s[44:45], v[162:163]
	s_delay_alu instid0(VALU_DEP_1) | instskip(SKIP_1) | instid1(VALU_DEP_1)
	v_add_f64_e32 v[100:101], v[102:103], v[100:101]
	v_fma_f64 v[102:103], v[50:51], s[28:29], v[164:165]
	v_add_f64_e32 v[98:99], v[102:103], v[98:99]
	v_fma_f64 v[102:103], v[40:41], s[52:53], v[166:167]
	s_delay_alu instid0(VALU_DEP_1) | instskip(SKIP_1) | instid1(VALU_DEP_1)
	v_add_f64_e32 v[100:101], v[102:103], v[100:101]
	v_fma_f64 v[102:103], v[58:59], s[4:5], v[168:169]
	v_add_f64_e32 v[98:99], v[102:103], v[98:99]
	v_fma_f64 v[102:103], v[48:49], s[54:55], v[170:171]
	s_delay_alu instid0(VALU_DEP_1) | instskip(SKIP_1) | instid1(VALU_DEP_1)
	v_add_f64_e32 v[102:103], v[102:103], v[100:101]
	v_fma_f64 v[100:101], v[80:81], s[26:27], v[172:173]
	v_add_f64_e32 v[100:101], v[100:101], v[98:99]
	v_fma_f64 v[98:99], v[56:57], s[20:21], v[174:175]
	s_delay_alu instid0(VALU_DEP_1) | instskip(SKIP_1) | instid1(VALU_DEP_1)
	v_add_f64_e32 v[98:99], v[98:99], v[102:103]
	v_fma_f64 v[102:103], v[38:39], s[28:29], -v[136:137]
	v_add_f64_e32 v[102:103], v[102:103], v[108:109]
	v_fma_f64 v[108:109], v[28:29], s[26:27], -v[122:123]
	s_delay_alu instid0(VALU_DEP_1) | instskip(SKIP_1) | instid1(VALU_DEP_1)
	v_add_f64_e32 v[102:103], v[108:109], v[102:103]
	v_fma_f64 v[108:109], v[30:31], s[26:27], v[118:119]
	v_add_f64_e32 v[104:105], v[108:109], v[104:105]
	v_fma_f64 v[108:109], v[36:37], s[22:23], -v[66:67]
	s_delay_alu instid0(VALU_DEP_1) | instskip(SKIP_1) | instid1(VALU_DEP_1)
	v_add_f64_e32 v[102:103], v[108:109], v[102:103]
	v_fma_f64 v[108:109], v[34:35], s[22:23], v[18:19]
	v_add_f64_e32 v[104:105], v[108:109], v[104:105]
	v_fma_f64 v[108:109], v[42:43], s[18:19], -v[8:9]
	v_fma_f64 v[8:9], v[42:43], s[18:19], v[8:9]
	s_delay_alu instid0(VALU_DEP_2) | instskip(SKIP_2) | instid1(VALU_DEP_2)
	v_add_f64_e32 v[102:103], v[108:109], v[102:103]
	v_fma_f64 v[108:109], v[32:33], s[6:7], v[4:5]
	v_fma_f64 v[4:5], v[32:33], s[50:51], v[4:5]
	v_add_f64_e32 v[104:105], v[108:109], v[104:105]
	v_fma_f64 v[108:109], v[50:51], s[14:15], -v[12:13]
	s_delay_alu instid0(VALU_DEP_1) | instskip(SKIP_1) | instid1(VALU_DEP_1)
	v_add_f64_e32 v[102:103], v[108:109], v[102:103]
	v_fma_f64 v[108:109], v[40:41], s[40:41], v[194:195]
	v_add_f64_e32 v[104:105], v[108:109], v[104:105]
	v_fma_f64 v[108:109], v[58:59], s[10:11], -v[196:197]
	s_delay_alu instid0(VALU_DEP_1) | instskip(SKIP_1) | instid1(VALU_DEP_1)
	v_add_f64_e32 v[102:103], v[108:109], v[102:103]
	;; [unrolled: 5-line block ×3, first 2 shown]
	v_fma_f64 v[102:103], v[56:57], s[48:49], v[202:203]
	v_add_f64_e32 v[102:103], v[102:103], v[108:109]
	v_fma_f64 v[108:109], v[38:39], s[22:23], -v[204:205]
	s_delay_alu instid0(VALU_DEP_1) | instskip(SKIP_1) | instid1(VALU_DEP_2)
	v_add_f64_e32 v[106:107], v[108:109], v[106:107]
	v_fma_f64 v[108:109], v[44:45], s[22:23], v[206:207]
	v_add_f64_e32 v[106:107], v[112:113], v[106:107]
	s_delay_alu instid0(VALU_DEP_2) | instskip(SKIP_1) | instid1(VALU_DEP_1)
	v_add_f64_e32 v[108:109], v[108:109], v[114:115]
	v_fma_f64 v[112:113], v[30:31], s[14:15], v[210:211]
	v_add_f64_e32 v[108:109], v[112:113], v[108:109]
	v_fma_f64 v[112:113], v[36:37], s[4:5], -v[212:213]
	s_delay_alu instid0(VALU_DEP_1) | instskip(SKIP_1) | instid1(VALU_DEP_1)
	v_add_f64_e32 v[106:107], v[112:113], v[106:107]
	v_fma_f64 v[112:113], v[34:35], s[4:5], v[214:215]
	v_add_f64_e32 v[108:109], v[112:113], v[108:109]
	v_fma_f64 v[112:113], v[42:43], s[10:11], -v[216:217]
	s_delay_alu instid0(VALU_DEP_1) | instskip(SKIP_1) | instid1(VALU_DEP_1)
	;; [unrolled: 5-line block ×6, first 2 shown]
	v_add_f64_e32 v[110:111], v[112:113], v[110:111]
	v_fma_f64 v[112:113], v[44:45], s[14:15], v[234:235]
	v_add_f64_e32 v[112:113], v[112:113], v[140:141]
	v_mul_f64_e32 v[140:141], s[54:55], v[92:93]
	s_delay_alu instid0(VALU_DEP_1) | instskip(NEXT) | instid1(VALU_DEP_1)
	v_fma_f64 v[114:115], v[28:29], s[4:5], -v[140:141]
	v_add_f64_e32 v[110:111], v[114:115], v[110:111]
	v_fma_f64 v[114:115], v[30:31], s[4:5], v[236:237]
	s_delay_alu instid0(VALU_DEP_1) | instskip(SKIP_1) | instid1(VALU_DEP_1)
	v_add_f64_e32 v[112:113], v[114:115], v[112:113]
	v_fma_f64 v[114:115], v[36:37], s[18:19], -v[238:239]
	v_add_f64_e32 v[110:111], v[114:115], v[110:111]
	v_fma_f64 v[114:115], v[34:35], s[18:19], v[240:241]
	s_delay_alu instid0(VALU_DEP_1) | instskip(SKIP_1) | instid1(VALU_DEP_1)
	v_add_f64_e32 v[112:113], v[114:115], v[112:113]
	v_fma_f64 v[114:115], v[42:43], s[28:29], -v[242:243]
	v_add_f64_e32 v[110:111], v[114:115], v[110:111]
	v_fma_f64 v[114:115], v[32:33], s[52:53], v[244:245]
	s_delay_alu instid0(VALU_DEP_1) | instskip(SKIP_1) | instid1(VALU_DEP_1)
	v_add_f64_e32 v[112:113], v[114:115], v[112:113]
	v_fma_f64 v[114:115], v[50:51], s[34:35], -v[246:247]
	v_add_f64_e32 v[110:111], v[114:115], v[110:111]
	v_fma_f64 v[114:115], v[40:41], s[16:17], v[248:249]
	s_delay_alu instid0(VALU_DEP_1) | instskip(SKIP_1) | instid1(VALU_DEP_1)
	v_add_f64_e32 v[112:113], v[114:115], v[112:113]
	v_fma_f64 v[114:115], v[58:59], s[22:23], -v[250:251]
	v_add_f64_e32 v[110:111], v[114:115], v[110:111]
	v_fma_f64 v[114:115], v[48:49], s[44:45], v[252:253]
	s_delay_alu instid0(VALU_DEP_1) | instskip(SKIP_2) | instid1(VALU_DEP_2)
	v_add_f64_e32 v[114:115], v[114:115], v[112:113]
	v_fma_f64 v[112:113], v[80:81], s[10:11], -v[0:1]
	v_fma_f64 v[0:1], v[80:81], s[10:11], v[0:1]
	v_add_f64_e32 v[112:113], v[112:113], v[110:111]
	v_fma_f64 v[110:111], v[56:57], s[24:25], v[254:255]
	s_delay_alu instid0(VALU_DEP_1) | instskip(SKIP_1) | instid1(VALU_DEP_1)
	v_add_f64_e32 v[110:111], v[110:111], v[114:115]
	v_fma_f64 v[114:115], v[38:39], s[4:5], -v[120:121]
	v_add_f64_e32 v[114:115], v[114:115], v[158:159]
	v_mul_f64_e32 v[158:159], s[48:49], v[76:77]
	v_mul_f64_e32 v[76:77], s[56:57], v[76:77]
	s_delay_alu instid0(VALU_DEP_2) | instskip(NEXT) | instid1(VALU_DEP_1)
	v_fma_f64 v[116:117], v[44:45], s[4:5], v[158:159]
	v_add_f64_e32 v[116:117], v[116:117], v[124:125]
	v_mul_f64_e32 v[124:125], s[50:51], v[92:93]
	v_mul_f64_e32 v[92:93], s[52:53], v[92:93]
	s_delay_alu instid0(VALU_DEP_2) | instskip(NEXT) | instid1(VALU_DEP_1)
	v_fma_f64 v[64:65], v[28:29], s[18:19], -v[124:125]
	v_add_f64_e32 v[64:65], v[64:65], v[114:115]
	v_fma_f64 v[114:115], v[30:31], s[18:19], v[148:149]
	s_delay_alu instid0(VALU_DEP_1) | instskip(SKIP_2) | instid1(VALU_DEP_3)
	v_add_f64_e32 v[114:115], v[114:115], v[116:117]
	v_fma_f64 v[116:117], v[36:37], s[34:35], -v[16:17]
	v_fma_f64 v[16:17], v[36:37], s[34:35], v[16:17]
	v_add_f64_e32 v[6:7], v[6:7], v[114:115]
	s_delay_alu instid0(VALU_DEP_3) | instskip(NEXT) | instid1(VALU_DEP_1)
	v_add_f64_e32 v[64:65], v[116:117], v[64:65]
	v_add_f64_e32 v[10:11], v[10:11], v[64:65]
	v_mul_f64_e32 v[64:65], s[26:27], v[46:47]
	v_mul_f64_e32 v[46:47], s[4:5], v[46:47]
	s_delay_alu instid0(VALU_DEP_3) | instskip(NEXT) | instid1(VALU_DEP_3)
	v_add_f64_e32 v[10:11], v[14:15], v[10:11]
	v_fma_f64 v[114:115], v[32:33], s[20:21], v[64:65]
	v_mul_f64_e32 v[14:15], s[10:11], v[52:53]
	s_delay_alu instid0(VALU_DEP_2) | instskip(NEXT) | instid1(VALU_DEP_2)
	v_add_f64_e32 v[6:7], v[114:115], v[6:7]
	v_fma_f64 v[114:115], v[40:41], s[24:25], v[14:15]
	v_fma_f64 v[14:15], v[40:41], s[56:57], v[14:15]
	s_delay_alu instid0(VALU_DEP_2) | instskip(SKIP_1) | instid1(VALU_DEP_1)
	v_add_f64_e32 v[6:7], v[114:115], v[6:7]
	v_fma_f64 v[114:115], v[58:59], s[14:15], -v[182:183]
	v_add_f64_e32 v[10:11], v[114:115], v[10:11]
	v_fma_f64 v[114:115], v[48:49], s[46:47], v[184:185]
	s_delay_alu instid0(VALU_DEP_1) | instskip(SKIP_1) | instid1(VALU_DEP_1)
	v_add_f64_e32 v[6:7], v[114:115], v[6:7]
	v_fma_f64 v[114:115], v[80:81], s[28:29], -v[186:187]
	v_add_f64_e32 v[116:117], v[114:115], v[10:11]
	v_mul_f64_e32 v[10:11], s[28:29], v[84:85]
	v_mul_f64_e32 v[84:85], s[14:15], v[84:85]
	s_delay_alu instid0(VALU_DEP_2) | instskip(SKIP_1) | instid1(VALU_DEP_2)
	v_fma_f64 v[114:115], v[56:57], s[52:53], v[10:11]
	v_fma_f64 v[10:11], v[56:57], s[38:39], v[10:11]
	v_add_f64_e32 v[114:115], v[114:115], v[6:7]
	v_mul_f64_e32 v[6:7], s[56:57], v[94:95]
	s_delay_alu instid0(VALU_DEP_1) | instskip(SKIP_1) | instid1(VALU_DEP_2)
	v_fma_f64 v[94:95], v[38:39], s[10:11], -v[6:7]
	v_fma_f64 v[6:7], v[38:39], s[10:11], v[6:7]
	v_add_f64_e32 v[68:69], v[94:95], v[68:69]
	v_fma_f64 v[94:95], v[44:45], s[10:11], v[76:77]
	v_fma_f64 v[76:77], v[44:45], s[10:11], -v[76:77]
	s_delay_alu instid0(VALU_DEP_2) | instskip(SKIP_2) | instid1(VALU_DEP_2)
	v_add_f64_e32 v[70:71], v[94:95], v[70:71]
	v_fma_f64 v[94:95], v[28:29], s[28:29], -v[92:93]
	v_fma_f64 v[92:93], v[28:29], s[28:29], v[92:93]
	v_add_f64_e32 v[68:69], v[94:95], v[68:69]
	v_fma_f64 v[94:95], v[30:31], s[28:29], v[78:79]
	v_fma_f64 v[78:79], v[30:31], s[28:29], -v[78:79]
	s_delay_alu instid0(VALU_DEP_2) | instskip(SKIP_1) | instid1(VALU_DEP_1)
	v_add_f64_e32 v[70:71], v[94:95], v[70:71]
	v_fma_f64 v[94:95], v[36:37], s[26:27], -v[88:89]
	v_add_f64_e32 v[68:69], v[94:95], v[68:69]
	v_fma_f64 v[94:95], v[34:35], s[26:27], v[90:91]
	s_delay_alu instid0(VALU_DEP_1) | instskip(SKIP_1) | instid1(VALU_DEP_1)
	v_add_f64_e32 v[70:71], v[94:95], v[70:71]
	v_fma_f64 v[94:95], v[42:43], s[4:5], -v[86:87]
	v_add_f64_e32 v[68:69], v[94:95], v[68:69]
	v_fma_f64 v[94:95], v[32:33], s[48:49], v[46:47]
	v_fma_f64 v[46:47], v[32:33], s[54:55], v[46:47]
	s_delay_alu instid0(VALU_DEP_2) | instskip(SKIP_1) | instid1(VALU_DEP_1)
	v_add_f64_e32 v[70:71], v[94:95], v[70:71]
	v_mul_f64_e32 v[94:95], s[30:31], v[54:55]
	v_fma_f64 v[54:55], v[50:51], s[22:23], -v[94:95]
	s_delay_alu instid0(VALU_DEP_1) | instskip(SKIP_1) | instid1(VALU_DEP_1)
	v_add_f64_e32 v[54:55], v[54:55], v[68:69]
	v_mul_f64_e32 v[68:69], s[22:23], v[52:53]
	v_fma_f64 v[52:53], v[40:41], s[30:31], v[68:69]
	v_fma_f64 v[68:69], v[40:41], s[44:45], v[68:69]
	s_delay_alu instid0(VALU_DEP_2) | instskip(SKIP_1) | instid1(VALU_DEP_2)
	v_add_f64_e32 v[52:53], v[52:53], v[70:71]
	v_mul_f64_e32 v[70:71], s[16:17], v[62:63]
	v_add_f64_e32 v[52:53], v[60:61], v[52:53]
	s_delay_alu instid0(VALU_DEP_2) | instskip(SKIP_1) | instid1(VALU_DEP_2)
	v_fma_f64 v[62:63], v[58:59], s[34:35], -v[70:71]
	v_fma_f64 v[60:61], v[80:81], s[14:15], -v[82:83]
	v_add_f64_e32 v[54:55], v[62:63], v[54:55]
	scratch_load_b64 v[62:63], off, off offset:176 th:TH_LOAD_LU ; 8-byte Folded Reload
	v_add_f64_e32 v[54:55], v[60:61], v[54:55]
	v_fma_f64 v[60:61], v[56:57], s[40:41], v[84:85]
	s_delay_alu instid0(VALU_DEP_1)
	v_add_f64_e32 v[52:53], v[60:61], v[52:53]
	v_fma_f64 v[60:61], v[38:39], s[18:19], -v[128:129]
	scratch_load_b64 v[128:129], off, off offset:168 th:TH_LOAD_LU ; 8-byte Folded Reload
	s_wait_loadcnt 0x1
	v_add_f64_e32 v[60:61], v[60:61], v[62:63]
	v_fma_f64 v[62:63], v[44:45], s[18:19], v[130:131]
	v_fma_f64 v[130:131], v[56:57], s[42:43], v[174:175]
	s_wait_loadcnt 0x0
	s_delay_alu instid0(VALU_DEP_2) | instskip(SKIP_1) | instid1(VALU_DEP_1)
	v_add_f64_e32 v[62:63], v[62:63], v[128:129]
	v_fma_f64 v[128:129], v[28:29], s[34:35], -v[132:133]
	v_add_f64_e32 v[60:61], v[128:129], v[60:61]
	v_fma_f64 v[128:129], v[30:31], s[34:35], v[134:135]
	s_delay_alu instid0(VALU_DEP_1) | instskip(SKIP_1) | instid1(VALU_DEP_1)
	v_add_f64_e32 v[62:63], v[128:129], v[62:63]
	v_fma_f64 v[128:129], v[36:37], s[10:11], -v[144:145]
	v_add_f64_e32 v[60:61], v[128:129], v[60:61]
	v_fma_f64 v[128:129], v[34:35], s[10:11], v[146:147]
	s_delay_alu instid0(VALU_DEP_1) | instskip(SKIP_1) | instid1(VALU_DEP_1)
	;; [unrolled: 5-line block ×5, first 2 shown]
	v_add_f64_e32 v[128:129], v[128:129], v[62:63]
	v_fma_f64 v[62:63], v[80:81], s[26:27], -v[172:173]
	v_add_f64_e32 v[62:63], v[62:63], v[60:61]
	s_delay_alu instid0(VALU_DEP_3)
	v_add_f64_e32 v[60:61], v[130:131], v[128:129]
	scratch_load_b64 v[128:129], off, off offset:160 th:TH_LOAD_LU ; 8-byte Folded Reload
	s_wait_loadcnt 0x0
	v_add_f64_e32 v[6:7], v[6:7], v[128:129]
	scratch_load_b64 v[128:129], off, off offset:152 th:TH_LOAD_LU ; 8-byte Folded Reload
	v_add_f64_e32 v[6:7], v[92:93], v[6:7]
	s_wait_loadcnt 0x0
	v_add_f64_e32 v[76:77], v[76:77], v[128:129]
	s_delay_alu instid0(VALU_DEP_1) | instskip(SKIP_1) | instid1(VALU_DEP_1)
	v_add_f64_e32 v[76:77], v[78:79], v[76:77]
	v_fma_f64 v[78:79], v[36:37], s[26:27], v[88:89]
	v_add_f64_e32 v[6:7], v[78:79], v[6:7]
	v_fma_f64 v[78:79], v[34:35], s[26:27], -v[90:91]
	s_delay_alu instid0(VALU_DEP_1) | instskip(SKIP_1) | instid1(VALU_DEP_2)
	v_add_f64_e32 v[76:77], v[78:79], v[76:77]
	v_fma_f64 v[78:79], v[42:43], s[4:5], v[86:87]
	v_add_f64_e32 v[46:47], v[46:47], v[76:77]
	s_delay_alu instid0(VALU_DEP_2) | instskip(SKIP_1) | instid1(VALU_DEP_3)
	v_add_f64_e32 v[6:7], v[78:79], v[6:7]
	v_fma_f64 v[76:77], v[50:51], s[22:23], v[94:95]
	v_add_f64_e32 v[46:47], v[68:69], v[46:47]
	v_fma_f64 v[68:69], v[58:59], s[34:35], v[70:71]
	s_delay_alu instid0(VALU_DEP_3) | instskip(SKIP_1) | instid1(VALU_DEP_2)
	v_add_f64_e32 v[6:7], v[76:77], v[6:7]
	v_fma_f64 v[70:71], v[56:57], s[46:47], v[84:85]
	v_add_f64_e32 v[6:7], v[68:69], v[6:7]
	v_fma_f64 v[68:69], v[48:49], s[36:37], v[188:189]
	s_delay_alu instid0(VALU_DEP_1) | instskip(SKIP_1) | instid1(VALU_DEP_2)
	v_add_f64_e32 v[46:47], v[68:69], v[46:47]
	v_fma_f64 v[68:69], v[80:81], s[14:15], v[82:83]
	v_add_f64_e32 v[76:77], v[70:71], v[46:47]
	scratch_load_b64 v[46:47], off, off offset:144 th:TH_LOAD_LU ; 8-byte Folded Reload
	v_add_f64_e32 v[78:79], v[68:69], v[6:7]
	v_fma_f64 v[6:7], v[38:39], s[4:5], v[120:121]
	s_wait_loadcnt 0x0
	s_delay_alu instid0(VALU_DEP_1) | instskip(SKIP_1) | instid1(VALU_DEP_1)
	v_add_f64_e32 v[6:7], v[6:7], v[46:47]
	v_fma_f64 v[46:47], v[28:29], s[18:19], v[124:125]
	v_add_f64_e32 v[6:7], v[46:47], v[6:7]
	scratch_load_b64 v[46:47], off, off offset:136 th:TH_LOAD_LU ; 8-byte Folded Reload
	v_add_f64_e32 v[6:7], v[16:17], v[6:7]
	v_fma_f64 v[16:17], v[42:43], s[26:27], v[178:179]
	s_delay_alu instid0(VALU_DEP_1) | instskip(SKIP_1) | instid1(VALU_DEP_1)
	v_add_f64_e32 v[6:7], v[16:17], v[6:7]
	v_fma_f64 v[16:17], v[50:51], s[10:11], v[180:181]
	v_add_f64_e32 v[6:7], v[16:17], v[6:7]
	v_fma_f64 v[16:17], v[44:45], s[4:5], -v[158:159]
	s_wait_loadcnt 0x0
	s_delay_alu instid0(VALU_DEP_1) | instskip(SKIP_2) | instid1(VALU_DEP_2)
	v_add_f64_e32 v[16:17], v[16:17], v[46:47]
	v_fma_f64 v[46:47], v[30:31], s[18:19], -v[148:149]
	v_mov_b32_e32 v149, v2
	v_add_f64_e32 v[16:17], v[46:47], v[16:17]
	v_fma_f64 v[46:47], v[34:35], s[34:35], -v[176:177]
	s_delay_alu instid0(VALU_DEP_1) | instskip(SKIP_1) | instid1(VALU_DEP_1)
	v_add_f64_e32 v[16:17], v[46:47], v[16:17]
	v_fma_f64 v[46:47], v[32:33], s[42:43], v[64:65]
	v_add_f64_e32 v[16:17], v[46:47], v[16:17]
	s_delay_alu instid0(VALU_DEP_1) | instskip(SKIP_1) | instid1(VALU_DEP_1)
	v_add_f64_e32 v[14:15], v[14:15], v[16:17]
	v_fma_f64 v[16:17], v[58:59], s[14:15], v[182:183]
	v_add_f64_e32 v[6:7], v[16:17], v[6:7]
	v_fma_f64 v[16:17], v[48:49], s[40:41], v[184:185]
	s_delay_alu instid0(VALU_DEP_1) | instskip(SKIP_1) | instid1(VALU_DEP_2)
	v_add_f64_e32 v[14:15], v[16:17], v[14:15]
	v_fma_f64 v[16:17], v[80:81], s[28:29], v[186:187]
	v_add_f64_e32 v[82:83], v[10:11], v[14:15]
	scratch_load_b64 v[14:15], off, off offset:128 th:TH_LOAD_LU ; 8-byte Folded Reload
	v_add_f64_e32 v[84:85], v[16:17], v[6:7]
	v_fma_f64 v[6:7], v[38:39], s[14:15], v[232:233]
	v_fma_f64 v[10:11], v[44:45], s[14:15], -v[234:235]
	v_fma_f64 v[16:17], v[36:37], s[22:23], v[66:67]
	s_delay_alu instid0(VALU_DEP_3) | instskip(SKIP_1) | instid1(VALU_DEP_3)
	v_add_f64_e32 v[6:7], v[6:7], v[142:143]
	s_wait_loadcnt 0x0
	v_add_f64_e32 v[10:11], v[10:11], v[14:15]
	v_fma_f64 v[14:15], v[28:29], s[4:5], v[140:141]
	s_delay_alu instid0(VALU_DEP_1) | instskip(SKIP_1) | instid1(VALU_DEP_1)
	v_add_f64_e32 v[6:7], v[14:15], v[6:7]
	v_fma_f64 v[14:15], v[30:31], s[4:5], -v[236:237]
	v_add_f64_e32 v[10:11], v[14:15], v[10:11]
	v_fma_f64 v[14:15], v[36:37], s[18:19], v[238:239]
	s_delay_alu instid0(VALU_DEP_1) | instskip(SKIP_1) | instid1(VALU_DEP_1)
	v_add_f64_e32 v[6:7], v[14:15], v[6:7]
	v_fma_f64 v[14:15], v[34:35], s[18:19], -v[240:241]
	v_add_f64_e32 v[10:11], v[14:15], v[10:11]
	v_fma_f64 v[14:15], v[42:43], s[28:29], v[242:243]
	s_delay_alu instid0(VALU_DEP_1) | instskip(SKIP_1) | instid1(VALU_DEP_1)
	v_add_f64_e32 v[6:7], v[14:15], v[6:7]
	v_fma_f64 v[14:15], v[32:33], s[38:39], v[244:245]
	v_add_f64_e32 v[10:11], v[14:15], v[10:11]
	v_fma_f64 v[14:15], v[50:51], s[34:35], v[246:247]
	s_delay_alu instid0(VALU_DEP_1) | instskip(SKIP_1) | instid1(VALU_DEP_1)
	v_add_f64_e32 v[6:7], v[14:15], v[6:7]
	v_fma_f64 v[14:15], v[40:41], s[36:37], v[248:249]
	v_add_f64_e32 v[10:11], v[14:15], v[10:11]
	v_fma_f64 v[14:15], v[58:59], s[22:23], v[250:251]
	s_delay_alu instid0(VALU_DEP_1) | instskip(SKIP_1) | instid1(VALU_DEP_2)
	v_add_f64_e32 v[6:7], v[14:15], v[6:7]
	v_fma_f64 v[14:15], v[48:49], s[30:31], v[252:253]
	v_add_f64_e32 v[88:89], v[0:1], v[6:7]
	s_delay_alu instid0(VALU_DEP_2)
	v_add_f64_e32 v[10:11], v[14:15], v[10:11]
	v_fma_f64 v[14:15], v[56:57], s[56:57], v[254:255]
	v_mov_b32_e32 v255, v3
	scratch_load_b64 v[2:3], off, off offset:120 th:TH_LOAD_LU ; 8-byte Folded Reload
	v_fma_f64 v[0:1], v[38:39], s[22:23], v[204:205]
	v_fma_f64 v[6:7], v[44:45], s[22:23], -v[206:207]
	v_add_f64_e32 v[86:87], v[14:15], v[10:11]
	v_fma_f64 v[10:11], v[28:29], s[14:15], v[208:209]
	v_fma_f64 v[14:15], v[56:57], s[16:17], v[230:231]
	s_wait_loadcnt 0x0
	v_add_f64_e32 v[0:1], v[0:1], v[2:3]
	scratch_load_b64 v[2:3], off, off offset:112 th:TH_LOAD_LU ; 8-byte Folded Reload
	v_add_f64_e32 v[0:1], v[10:11], v[0:1]
	v_fma_f64 v[10:11], v[30:31], s[14:15], -v[210:211]
	s_wait_loadcnt 0x0
	v_add_f64_e32 v[6:7], v[6:7], v[2:3]
	scratch_load_b64 v[2:3], off, off offset:104 th:TH_LOAD_LU ; 8-byte Folded Reload
	v_add_f64_e32 v[6:7], v[10:11], v[6:7]
	v_fma_f64 v[10:11], v[36:37], s[4:5], v[212:213]
	s_delay_alu instid0(VALU_DEP_1) | instskip(SKIP_1) | instid1(VALU_DEP_1)
	v_add_f64_e32 v[0:1], v[10:11], v[0:1]
	v_fma_f64 v[10:11], v[34:35], s[4:5], -v[214:215]
	v_add_f64_e32 v[6:7], v[10:11], v[6:7]
	v_fma_f64 v[10:11], v[42:43], s[10:11], v[216:217]
	s_delay_alu instid0(VALU_DEP_1) | instskip(SKIP_1) | instid1(VALU_DEP_1)
	v_add_f64_e32 v[0:1], v[10:11], v[0:1]
	v_fma_f64 v[10:11], v[32:33], s[24:25], v[218:219]
	v_add_f64_e32 v[6:7], v[10:11], v[6:7]
	v_fma_f64 v[10:11], v[50:51], s[18:19], v[220:221]
	s_delay_alu instid0(VALU_DEP_1) | instskip(SKIP_1) | instid1(VALU_DEP_1)
	v_add_f64_e32 v[0:1], v[10:11], v[0:1]
	v_fma_f64 v[10:11], v[40:41], s[6:7], v[222:223]
	;; [unrolled: 5-line block ×3, first 2 shown]
	v_add_f64_e32 v[6:7], v[10:11], v[6:7]
	v_fma_f64 v[10:11], v[80:81], s[34:35], v[228:229]
	s_delay_alu instid0(VALU_DEP_2) | instskip(NEXT) | instid1(VALU_DEP_2)
	v_add_f64_e32 v[68:69], v[14:15], v[6:7]
	v_add_f64_e32 v[70:71], v[10:11], v[0:1]
	v_fma_f64 v[0:1], v[38:39], s[28:29], v[136:137]
	v_fma_f64 v[6:7], v[44:45], s[28:29], -v[126:127]
	v_fma_f64 v[10:11], v[28:29], s[26:27], v[122:123]
	v_fma_f64 v[14:15], v[30:31], s[26:27], -v[118:119]
	s_wait_loadcnt 0x0
	s_delay_alu instid0(VALU_DEP_4) | instskip(SKIP_3) | instid1(VALU_DEP_2)
	v_add_f64_e32 v[0:1], v[0:1], v[2:3]
	scratch_load_b64 v[2:3], off, off offset:96 th:TH_LOAD_LU ; 8-byte Folded Reload
	v_add_f64_e32 v[0:1], v[10:11], v[0:1]
	v_fma_f64 v[10:11], v[34:35], s[22:23], -v[18:19]
	v_add_f64_e32 v[0:1], v[16:17], v[0:1]
	s_delay_alu instid0(VALU_DEP_1) | instskip(SKIP_4) | instid1(VALU_DEP_2)
	v_add_f64_e32 v[0:1], v[8:9], v[0:1]
	v_fma_f64 v[8:9], v[40:41], s[46:47], v[194:195]
	s_wait_loadcnt 0x0
	v_add_f64_e32 v[6:7], v[6:7], v[2:3]
	v_fma_f64 v[2:3], v[50:51], s[14:15], v[12:13]
	v_add_f64_e32 v[6:7], v[14:15], v[6:7]
	s_delay_alu instid0(VALU_DEP_2) | instskip(SKIP_1) | instid1(VALU_DEP_3)
	v_add_f64_e32 v[0:1], v[2:3], v[0:1]
	v_fma_f64 v[2:3], v[48:49], s[56:57], v[198:199]
	v_add_f64_e32 v[6:7], v[10:11], v[6:7]
	s_delay_alu instid0(VALU_DEP_1) | instskip(SKIP_1) | instid1(VALU_DEP_2)
	v_add_f64_e32 v[4:5], v[4:5], v[6:7]
	v_fma_f64 v[6:7], v[58:59], s[10:11], v[196:197]
	v_add_f64_e32 v[4:5], v[8:9], v[4:5]
	v_fma_f64 v[8:9], v[80:81], s[4:5], v[200:201]
	s_delay_alu instid0(VALU_DEP_3) | instskip(SKIP_1) | instid1(VALU_DEP_4)
	v_add_f64_e32 v[0:1], v[6:7], v[0:1]
	v_fma_f64 v[6:7], v[56:57], s[54:55], v[202:203]
	v_add_f64_e32 v[2:3], v[2:3], v[4:5]
	s_delay_alu instid0(VALU_DEP_3)
	v_add_f64_e32 v[30:31], v[8:9], v[0:1]
	scratch_load_b32 v1, off, off offset:12 th:TH_LOAD_LU ; 4-byte Folded Reload
	v_and_b32_e32 v0, 0xffff, v138
	v_dual_mov_b32 v120, v97 :: v_dual_mov_b32 v97, v139
	v_add_f64_e32 v[28:29], v[6:7], v[2:3]
	s_wait_loadcnt 0x0
	s_delay_alu instid0(VALU_DEP_3)
	v_lshl_add_u32 v0, v0, 4, v1
	scratch_load_b128 v[1:4], off, off offset:64 th:TH_LOAD_LU ; 16-byte Folded Reload
	s_wait_loadcnt 0x0
	ds_store_b128 v0, v[1:4]
	ds_store_b128 v0, v[102:105] offset:16
	ds_store_b128 v0, v[106:109] offset:32
	;; [unrolled: 1-line block ×8, first 2 shown]
	scratch_load_b128 v[1:4], off, off offset:80 th:TH_LOAD_LU ; 16-byte Folded Reload
	s_wait_loadcnt 0x0
	ds_store_b128 v0, v[1:4] offset:144
	ds_store_b128 v0, v[150:153] offset:160
	;; [unrolled: 1-line block ×8, first 2 shown]
.LBB0_13:
	s_or_b32 exec_lo, exec_lo, s33
	global_wb scope:SCOPE_SE
	s_wait_storecnt_dscnt 0x0
	s_barrier_signal -1
	s_barrier_wait -1
	global_inv scope:SCOPE_SE
	ds_load_b128 v[0:3], v97 offset:272
	ds_load_b128 v[4:7], v97 offset:544
	;; [unrolled: 1-line block ×3, first 2 shown]
	s_and_b32 s4, exec_lo, vcc_lo
	s_wait_dscnt 0x2
	v_mul_f64_e32 v[12:13], v[26:27], v[2:3]
	v_mul_f64_e32 v[14:15], v[26:27], v[0:1]
	s_wait_dscnt 0x1
	v_mul_f64_e32 v[16:17], v[22:23], v[6:7]
	v_mul_f64_e32 v[18:19], v[22:23], v[4:5]
	;; [unrolled: 3-line block ×3, first 2 shown]
	v_fma_f64 v[12:13], v[24:25], v[0:1], v[12:13]
	v_fma_f64 v[14:15], v[24:25], v[2:3], -v[14:15]
	v_fma_f64 v[4:5], v[20:21], v[4:5], v[16:17]
	v_fma_f64 v[6:7], v[20:21], v[6:7], -v[18:19]
	;; [unrolled: 2-line block ×3, first 2 shown]
	ds_load_b128 v[0:3], v97
	s_wait_dscnt 0x0
	v_add_f64_e64 v[16:17], v[0:1], -v[4:5]
	v_add_f64_e64 v[18:19], v[2:3], -v[6:7]
	;; [unrolled: 1-line block ×4, first 2 shown]
	s_delay_alu instid0(VALU_DEP_4) | instskip(NEXT) | instid1(VALU_DEP_4)
	v_fma_f64 v[10:11], v[0:1], 2.0, -v[16:17]
	v_fma_f64 v[20:21], v[2:3], 2.0, -v[18:19]
	s_delay_alu instid0(VALU_DEP_4) | instskip(NEXT) | instid1(VALU_DEP_4)
	v_fma_f64 v[2:3], v[12:13], 2.0, -v[8:9]
	v_fma_f64 v[6:7], v[14:15], 2.0, -v[4:5]
	v_add_f64_e32 v[0:1], v[16:17], v[4:5]
	s_delay_alu instid0(VALU_DEP_3) | instskip(NEXT) | instid1(VALU_DEP_3)
	v_add_f64_e64 v[4:5], v[10:11], -v[2:3]
	v_add_f64_e64 v[6:7], v[20:21], -v[6:7]
	;; [unrolled: 1-line block ×3, first 2 shown]
	s_delay_alu instid0(VALU_DEP_4) | instskip(NEXT) | instid1(VALU_DEP_4)
	v_fma_f64 v[8:9], v[16:17], 2.0, -v[0:1]
	v_fma_f64 v[12:13], v[10:11], 2.0, -v[4:5]
	s_delay_alu instid0(VALU_DEP_4) | instskip(NEXT) | instid1(VALU_DEP_4)
	v_fma_f64 v[14:15], v[20:21], 2.0, -v[6:7]
	v_fma_f64 v[10:11], v[18:19], 2.0, -v[2:3]
	ds_store_b128 v96, v[4:7] offset:544
	ds_store_b128 v96, v[0:3] offset:816
	ds_store_b128 v96, v[12:15]
	ds_store_b128 v96, v[8:11] offset:272
	global_wb scope:SCOPE_SE
	s_wait_dscnt 0x0
	s_barrier_signal -1
	s_barrier_wait -1
	global_inv scope:SCOPE_SE
	scratch_load_b64 v[10:11], off, off offset:4 ; 8-byte Folded Reload
	s_wait_alu 0xfffe
	s_mov_b32 exec_lo, s4
	s_cbranch_execz .LBB0_15
; %bb.14:
	global_load_b128 v[0:3], v149, s[8:9]
	scratch_load_b32 v4, off, off th:TH_LOAD_LU ; 4-byte Folded Reload
	s_mov_b32 s4, 0x1e1e1e1e
	s_mov_b32 s5, 0x3f8e1e1e
	s_wait_loadcnt 0x0
	ds_load_b128 v[4:7], v4
	s_wait_dscnt 0x0
	v_mul_f64_e32 v[8:9], v[6:7], v[2:3]
	v_mul_f64_e32 v[2:3], v[4:5], v[2:3]
	s_delay_alu instid0(VALU_DEP_2) | instskip(NEXT) | instid1(VALU_DEP_2)
	v_fma_f64 v[4:5], v[4:5], v[0:1], v[8:9]
	v_fma_f64 v[0:1], v[0:1], v[6:7], -v[2:3]
	v_mad_co_u64_u32 v[6:7], null, s2, v10, 0
	v_mad_co_u64_u32 v[8:9], null, s0, v120, 0
	s_wait_alu 0xfffe
	s_delay_alu instid0(VALU_DEP_4) | instskip(NEXT) | instid1(VALU_DEP_4)
	v_mul_f64_e32 v[2:3], s[4:5], v[4:5]
	v_mul_f64_e32 v[4:5], s[4:5], v[0:1]
	s_delay_alu instid0(VALU_DEP_3) | instskip(NEXT) | instid1(VALU_DEP_1)
	v_dual_mov_b32 v0, v7 :: v_dual_mov_b32 v1, v9
	v_mad_co_u64_u32 v[9:10], null, s3, v10, v[0:1]
	s_delay_alu instid0(VALU_DEP_1) | instskip(SKIP_1) | instid1(VALU_DEP_1)
	v_mov_b32_e32 v7, v9
	v_mad_co_u64_u32 v[0:1], null, s1, v120, v[1:2]
	v_mov_b32_e32 v9, v0
	s_delay_alu instid0(VALU_DEP_3) | instskip(NEXT) | instid1(VALU_DEP_2)
	v_lshlrev_b64_e32 v[0:1], 4, v[6:7]
	v_lshlrev_b64_e32 v[6:7], 4, v[8:9]
	s_delay_alu instid0(VALU_DEP_2) | instskip(NEXT) | instid1(VALU_DEP_3)
	v_add_co_u32 v0, vcc_lo, s12, v0
	v_add_co_ci_u32_e32 v1, vcc_lo, s13, v1, vcc_lo
	s_delay_alu instid0(VALU_DEP_2) | instskip(SKIP_1) | instid1(VALU_DEP_2)
	v_add_co_u32 v6, vcc_lo, v0, v6
	s_wait_alu 0xfffd
	v_add_co_ci_u32_e32 v7, vcc_lo, v1, v7, vcc_lo
	global_store_b128 v[6:7], v[2:5], off
	global_load_b128 v[2:5], v149, s[8:9] offset:64
	ds_load_b128 v[6:9], v96 offset:64
	ds_load_b128 v[10:13], v96 offset:128
	s_wait_loadcnt_dscnt 0x1
	v_mul_f64_e32 v[14:15], v[8:9], v[4:5]
	v_mul_f64_e32 v[4:5], v[6:7], v[4:5]
	s_delay_alu instid0(VALU_DEP_2) | instskip(SKIP_3) | instid1(VALU_DEP_2)
	v_fma_f64 v[6:7], v[6:7], v[2:3], v[14:15]
	scratch_load_b32 v14, off, off offset:60 th:TH_LOAD_LU ; 4-byte Folded Reload
	v_fma_f64 v[4:5], v[2:3], v[8:9], -v[4:5]
	v_mul_f64_e32 v[2:3], s[4:5], v[6:7]
	v_mul_f64_e32 v[4:5], s[4:5], v[4:5]
	s_wait_loadcnt 0x0
	v_mad_co_u64_u32 v[8:9], null, s0, v14, 0
	s_delay_alu instid0(VALU_DEP_1) | instskip(NEXT) | instid1(VALU_DEP_1)
	v_mov_b32_e32 v6, v9
	v_mad_co_u64_u32 v[6:7], null, s1, v14, v[6:7]
	s_delay_alu instid0(VALU_DEP_1) | instskip(NEXT) | instid1(VALU_DEP_1)
	v_mov_b32_e32 v9, v6
	v_lshlrev_b64_e32 v[6:7], 4, v[8:9]
	s_delay_alu instid0(VALU_DEP_1) | instskip(SKIP_1) | instid1(VALU_DEP_2)
	v_add_co_u32 v6, vcc_lo, v0, v6
	s_wait_alu 0xfffd
	v_add_co_ci_u32_e32 v7, vcc_lo, v1, v7, vcc_lo
	global_store_b128 v[6:7], v[2:5], off
	global_load_b128 v[2:5], v149, s[8:9] offset:128
	s_wait_loadcnt_dscnt 0x0
	v_mul_f64_e32 v[6:7], v[12:13], v[4:5]
	v_mul_f64_e32 v[4:5], v[10:11], v[4:5]
	s_delay_alu instid0(VALU_DEP_2) | instskip(SKIP_3) | instid1(VALU_DEP_2)
	v_fma_f64 v[6:7], v[10:11], v[2:3], v[6:7]
	scratch_load_b32 v10, off, off offset:56 th:TH_LOAD_LU ; 4-byte Folded Reload
	v_fma_f64 v[4:5], v[2:3], v[12:13], -v[4:5]
	v_mul_f64_e32 v[2:3], s[4:5], v[6:7]
	v_mul_f64_e32 v[4:5], s[4:5], v[4:5]
	s_wait_loadcnt 0x0
	v_mad_co_u64_u32 v[8:9], null, s0, v10, 0
	s_delay_alu instid0(VALU_DEP_1) | instskip(NEXT) | instid1(VALU_DEP_1)
	v_mov_b32_e32 v6, v9
	v_mad_co_u64_u32 v[6:7], null, s1, v10, v[6:7]
	s_delay_alu instid0(VALU_DEP_1) | instskip(NEXT) | instid1(VALU_DEP_1)
	v_mov_b32_e32 v9, v6
	v_lshlrev_b64_e32 v[6:7], 4, v[8:9]
	s_delay_alu instid0(VALU_DEP_1) | instskip(SKIP_1) | instid1(VALU_DEP_2)
	v_add_co_u32 v6, vcc_lo, v0, v6
	s_wait_alu 0xfffd
	v_add_co_ci_u32_e32 v7, vcc_lo, v1, v7, vcc_lo
	global_store_b128 v[6:7], v[2:5], off
	global_load_b128 v[2:5], v149, s[8:9] offset:192
	ds_load_b128 v[6:9], v96 offset:192
	ds_load_b128 v[10:13], v96 offset:256
	s_wait_loadcnt_dscnt 0x1
	v_mul_f64_e32 v[14:15], v[8:9], v[4:5]
	v_mul_f64_e32 v[4:5], v[6:7], v[4:5]
	s_delay_alu instid0(VALU_DEP_2) | instskip(SKIP_3) | instid1(VALU_DEP_2)
	v_fma_f64 v[6:7], v[6:7], v[2:3], v[14:15]
	scratch_load_b32 v14, off, off offset:52 th:TH_LOAD_LU ; 4-byte Folded Reload
	v_fma_f64 v[4:5], v[2:3], v[8:9], -v[4:5]
	v_mul_f64_e32 v[2:3], s[4:5], v[6:7]
	v_mul_f64_e32 v[4:5], s[4:5], v[4:5]
	s_wait_loadcnt 0x0
	v_mad_co_u64_u32 v[8:9], null, s0, v14, 0
	s_delay_alu instid0(VALU_DEP_1) | instskip(NEXT) | instid1(VALU_DEP_1)
	v_mov_b32_e32 v6, v9
	v_mad_co_u64_u32 v[6:7], null, s1, v14, v[6:7]
	s_delay_alu instid0(VALU_DEP_1) | instskip(NEXT) | instid1(VALU_DEP_1)
	v_mov_b32_e32 v9, v6
	v_lshlrev_b64_e32 v[6:7], 4, v[8:9]
	s_delay_alu instid0(VALU_DEP_1) | instskip(SKIP_1) | instid1(VALU_DEP_2)
	v_add_co_u32 v6, vcc_lo, v0, v6
	s_wait_alu 0xfffd
	v_add_co_ci_u32_e32 v7, vcc_lo, v1, v7, vcc_lo
	global_store_b128 v[6:7], v[2:5], off
	global_load_b128 v[2:5], v149, s[8:9] offset:256
	s_wait_loadcnt_dscnt 0x0
	v_mul_f64_e32 v[6:7], v[12:13], v[4:5]
	v_mul_f64_e32 v[4:5], v[10:11], v[4:5]
	s_delay_alu instid0(VALU_DEP_2) | instskip(SKIP_3) | instid1(VALU_DEP_2)
	v_fma_f64 v[6:7], v[10:11], v[2:3], v[6:7]
	scratch_load_b32 v10, off, off offset:48 th:TH_LOAD_LU ; 4-byte Folded Reload
	v_fma_f64 v[4:5], v[2:3], v[12:13], -v[4:5]
	v_mul_f64_e32 v[2:3], s[4:5], v[6:7]
	v_mul_f64_e32 v[4:5], s[4:5], v[4:5]
	s_wait_loadcnt 0x0
	v_mad_co_u64_u32 v[8:9], null, s0, v10, 0
	s_delay_alu instid0(VALU_DEP_1) | instskip(NEXT) | instid1(VALU_DEP_1)
	v_mov_b32_e32 v6, v9
	v_mad_co_u64_u32 v[6:7], null, s1, v10, v[6:7]
	s_delay_alu instid0(VALU_DEP_1) | instskip(NEXT) | instid1(VALU_DEP_1)
	v_mov_b32_e32 v9, v6
	v_lshlrev_b64_e32 v[6:7], 4, v[8:9]
	s_delay_alu instid0(VALU_DEP_1) | instskip(SKIP_1) | instid1(VALU_DEP_2)
	;; [unrolled: 48-line block ×6, first 2 shown]
	v_add_co_u32 v6, vcc_lo, v0, v6
	s_wait_alu 0xfffd
	v_add_co_ci_u32_e32 v7, vcc_lo, v1, v7, vcc_lo
	global_store_b128 v[6:7], v[2:5], off
	global_load_b128 v[2:5], v149, s[8:9] offset:832
	ds_load_b128 v[6:9], v96 offset:832
	ds_load_b128 v[10:13], v96 offset:896
	s_wait_loadcnt_dscnt 0x1
	v_mul_f64_e32 v[14:15], v[8:9], v[4:5]
	v_mul_f64_e32 v[4:5], v[6:7], v[4:5]
	s_delay_alu instid0(VALU_DEP_2) | instskip(NEXT) | instid1(VALU_DEP_2)
	v_fma_f64 v[6:7], v[6:7], v[2:3], v[14:15]
	v_fma_f64 v[4:5], v[2:3], v[8:9], -v[4:5]
	v_mad_co_u64_u32 v[8:9], null, s0, v255, 0
	s_delay_alu instid0(VALU_DEP_3) | instskip(NEXT) | instid1(VALU_DEP_3)
	v_mul_f64_e32 v[2:3], s[4:5], v[6:7]
	v_mul_f64_e32 v[4:5], s[4:5], v[4:5]
	s_delay_alu instid0(VALU_DEP_3) | instskip(NEXT) | instid1(VALU_DEP_1)
	v_mov_b32_e32 v6, v9
	v_mad_co_u64_u32 v[6:7], null, s1, v255, v[6:7]
	s_delay_alu instid0(VALU_DEP_1) | instskip(NEXT) | instid1(VALU_DEP_1)
	v_mov_b32_e32 v9, v6
	v_lshlrev_b64_e32 v[6:7], 4, v[8:9]
	s_delay_alu instid0(VALU_DEP_1) | instskip(SKIP_1) | instid1(VALU_DEP_2)
	v_add_co_u32 v6, vcc_lo, v0, v6
	s_wait_alu 0xfffd
	v_add_co_ci_u32_e32 v7, vcc_lo, v1, v7, vcc_lo
	global_store_b128 v[6:7], v[2:5], off
	global_load_b128 v[2:5], v149, s[8:9] offset:896
	s_wait_loadcnt_dscnt 0x0
	v_mul_f64_e32 v[6:7], v[12:13], v[4:5]
	v_mul_f64_e32 v[4:5], v[10:11], v[4:5]
	s_delay_alu instid0(VALU_DEP_2) | instskip(NEXT) | instid1(VALU_DEP_2)
	v_fma_f64 v[6:7], v[10:11], v[2:3], v[6:7]
	v_fma_f64 v[4:5], v[2:3], v[12:13], -v[4:5]
	v_or_b32_e32 v10, 56, v120
	s_delay_alu instid0(VALU_DEP_1) | instskip(NEXT) | instid1(VALU_DEP_4)
	v_mad_co_u64_u32 v[8:9], null, s0, v10, 0
	v_mul_f64_e32 v[2:3], s[4:5], v[6:7]
	s_delay_alu instid0(VALU_DEP_4) | instskip(NEXT) | instid1(VALU_DEP_3)
	v_mul_f64_e32 v[4:5], s[4:5], v[4:5]
	v_mov_b32_e32 v6, v9
	s_delay_alu instid0(VALU_DEP_1) | instskip(NEXT) | instid1(VALU_DEP_1)
	v_mad_co_u64_u32 v[6:7], null, s1, v10, v[6:7]
	v_mov_b32_e32 v9, v6
	s_delay_alu instid0(VALU_DEP_1) | instskip(NEXT) | instid1(VALU_DEP_1)
	v_lshlrev_b64_e32 v[6:7], 4, v[8:9]
	v_add_co_u32 v6, vcc_lo, v0, v6
	s_wait_alu 0xfffd
	s_delay_alu instid0(VALU_DEP_2)
	v_add_co_ci_u32_e32 v7, vcc_lo, v1, v7, vcc_lo
	global_store_b128 v[6:7], v[2:5], off
	global_load_b128 v[2:5], v149, s[8:9] offset:960
	ds_load_b128 v[6:9], v96 offset:960
	ds_load_b128 v[10:13], v96 offset:1024
	s_wait_loadcnt_dscnt 0x1
	v_mul_f64_e32 v[14:15], v[8:9], v[4:5]
	v_mul_f64_e32 v[4:5], v[6:7], v[4:5]
	s_delay_alu instid0(VALU_DEP_2) | instskip(NEXT) | instid1(VALU_DEP_2)
	v_fma_f64 v[6:7], v[6:7], v[2:3], v[14:15]
	v_fma_f64 v[4:5], v[2:3], v[8:9], -v[4:5]
	v_or_b32_e32 v14, 60, v120
	s_delay_alu instid0(VALU_DEP_1) | instskip(NEXT) | instid1(VALU_DEP_4)
	v_mad_co_u64_u32 v[8:9], null, s0, v14, 0
	v_mul_f64_e32 v[2:3], s[4:5], v[6:7]
	s_delay_alu instid0(VALU_DEP_4) | instskip(NEXT) | instid1(VALU_DEP_3)
	v_mul_f64_e32 v[4:5], s[4:5], v[4:5]
	v_mov_b32_e32 v6, v9
	s_delay_alu instid0(VALU_DEP_1) | instskip(NEXT) | instid1(VALU_DEP_1)
	v_mad_co_u64_u32 v[6:7], null, s1, v14, v[6:7]
	v_mov_b32_e32 v9, v6
	s_delay_alu instid0(VALU_DEP_1) | instskip(NEXT) | instid1(VALU_DEP_1)
	v_lshlrev_b64_e32 v[6:7], 4, v[8:9]
	v_add_co_u32 v6, vcc_lo, v0, v6
	s_wait_alu 0xfffd
	s_delay_alu instid0(VALU_DEP_2)
	v_add_co_ci_u32_e32 v7, vcc_lo, v1, v7, vcc_lo
	global_store_b128 v[6:7], v[2:5], off
	global_load_b128 v[2:5], v149, s[8:9] offset:1024
	s_wait_loadcnt_dscnt 0x0
	v_mul_f64_e32 v[6:7], v[12:13], v[4:5]
	v_mul_f64_e32 v[4:5], v[10:11], v[4:5]
	s_delay_alu instid0(VALU_DEP_2) | instskip(NEXT) | instid1(VALU_DEP_2)
	v_fma_f64 v[6:7], v[10:11], v[2:3], v[6:7]
	v_fma_f64 v[4:5], v[2:3], v[12:13], -v[4:5]
	v_or_b32_e32 v10, 64, v120
	s_delay_alu instid0(VALU_DEP_1) | instskip(NEXT) | instid1(VALU_DEP_4)
	v_mad_co_u64_u32 v[8:9], null, s0, v10, 0
	v_mul_f64_e32 v[2:3], s[4:5], v[6:7]
	s_delay_alu instid0(VALU_DEP_4) | instskip(NEXT) | instid1(VALU_DEP_3)
	v_mul_f64_e32 v[4:5], s[4:5], v[4:5]
	v_mov_b32_e32 v6, v9
	s_delay_alu instid0(VALU_DEP_1) | instskip(NEXT) | instid1(VALU_DEP_1)
	v_mad_co_u64_u32 v[6:7], null, s1, v10, v[6:7]
	v_mov_b32_e32 v9, v6
	s_delay_alu instid0(VALU_DEP_1) | instskip(NEXT) | instid1(VALU_DEP_1)
	v_lshlrev_b64_e32 v[6:7], 4, v[8:9]
	v_add_co_u32 v0, vcc_lo, v0, v6
	s_wait_alu 0xfffd
	s_delay_alu instid0(VALU_DEP_2)
	v_add_co_ci_u32_e32 v1, vcc_lo, v1, v7, vcc_lo
	global_store_b128 v[0:1], v[2:5], off
.LBB0_15:
	s_nop 0
	s_sendmsg sendmsg(MSG_DEALLOC_VGPRS)
	s_endpgm
	.section	.rodata,"a",@progbits
	.p2align	6, 0x0
	.amdhsa_kernel bluestein_single_back_len68_dim1_dp_op_CI_CI
		.amdhsa_group_segment_fixed_size 16320
		.amdhsa_private_segment_fixed_size 284
		.amdhsa_kernarg_size 104
		.amdhsa_user_sgpr_count 2
		.amdhsa_user_sgpr_dispatch_ptr 0
		.amdhsa_user_sgpr_queue_ptr 0
		.amdhsa_user_sgpr_kernarg_segment_ptr 1
		.amdhsa_user_sgpr_dispatch_id 0
		.amdhsa_user_sgpr_private_segment_size 0
		.amdhsa_wavefront_size32 1
		.amdhsa_uses_dynamic_stack 0
		.amdhsa_enable_private_segment 1
		.amdhsa_system_sgpr_workgroup_id_x 1
		.amdhsa_system_sgpr_workgroup_id_y 0
		.amdhsa_system_sgpr_workgroup_id_z 0
		.amdhsa_system_sgpr_workgroup_info 0
		.amdhsa_system_vgpr_workitem_id 0
		.amdhsa_next_free_vgpr 256
		.amdhsa_next_free_sgpr 58
		.amdhsa_reserve_vcc 1
		.amdhsa_float_round_mode_32 0
		.amdhsa_float_round_mode_16_64 0
		.amdhsa_float_denorm_mode_32 3
		.amdhsa_float_denorm_mode_16_64 3
		.amdhsa_fp16_overflow 0
		.amdhsa_workgroup_processor_mode 1
		.amdhsa_memory_ordered 1
		.amdhsa_forward_progress 0
		.amdhsa_round_robin_scheduling 0
		.amdhsa_exception_fp_ieee_invalid_op 0
		.amdhsa_exception_fp_denorm_src 0
		.amdhsa_exception_fp_ieee_div_zero 0
		.amdhsa_exception_fp_ieee_overflow 0
		.amdhsa_exception_fp_ieee_underflow 0
		.amdhsa_exception_fp_ieee_inexact 0
		.amdhsa_exception_int_div_zero 0
	.end_amdhsa_kernel
	.text
.Lfunc_end0:
	.size	bluestein_single_back_len68_dim1_dp_op_CI_CI, .Lfunc_end0-bluestein_single_back_len68_dim1_dp_op_CI_CI
                                        ; -- End function
	.section	.AMDGPU.csdata,"",@progbits
; Kernel info:
; codeLenInByte = 18592
; NumSgprs: 60
; NumVgprs: 256
; ScratchSize: 284
; MemoryBound: 0
; FloatMode: 240
; IeeeMode: 1
; LDSByteSize: 16320 bytes/workgroup (compile time only)
; SGPRBlocks: 7
; VGPRBlocks: 31
; NumSGPRsForWavesPerEU: 60
; NumVGPRsForWavesPerEU: 256
; Occupancy: 5
; WaveLimiterHint : 1
; COMPUTE_PGM_RSRC2:SCRATCH_EN: 1
; COMPUTE_PGM_RSRC2:USER_SGPR: 2
; COMPUTE_PGM_RSRC2:TRAP_HANDLER: 0
; COMPUTE_PGM_RSRC2:TGID_X_EN: 1
; COMPUTE_PGM_RSRC2:TGID_Y_EN: 0
; COMPUTE_PGM_RSRC2:TGID_Z_EN: 0
; COMPUTE_PGM_RSRC2:TIDIG_COMP_CNT: 0
	.text
	.p2alignl 7, 3214868480
	.fill 96, 4, 3214868480
	.type	__hip_cuid_adeae53e4b3b025f,@object ; @__hip_cuid_adeae53e4b3b025f
	.section	.bss,"aw",@nobits
	.globl	__hip_cuid_adeae53e4b3b025f
__hip_cuid_adeae53e4b3b025f:
	.byte	0                               ; 0x0
	.size	__hip_cuid_adeae53e4b3b025f, 1

	.ident	"AMD clang version 19.0.0git (https://github.com/RadeonOpenCompute/llvm-project roc-6.4.0 25133 c7fe45cf4b819c5991fe208aaa96edf142730f1d)"
	.section	".note.GNU-stack","",@progbits
	.addrsig
	.addrsig_sym __hip_cuid_adeae53e4b3b025f
	.amdgpu_metadata
---
amdhsa.kernels:
  - .args:
      - .actual_access:  read_only
        .address_space:  global
        .offset:         0
        .size:           8
        .value_kind:     global_buffer
      - .actual_access:  read_only
        .address_space:  global
        .offset:         8
        .size:           8
        .value_kind:     global_buffer
      - .actual_access:  read_only
        .address_space:  global
        .offset:         16
        .size:           8
        .value_kind:     global_buffer
      - .actual_access:  read_only
        .address_space:  global
        .offset:         24
        .size:           8
        .value_kind:     global_buffer
      - .actual_access:  read_only
        .address_space:  global
        .offset:         32
        .size:           8
        .value_kind:     global_buffer
      - .offset:         40
        .size:           8
        .value_kind:     by_value
      - .address_space:  global
        .offset:         48
        .size:           8
        .value_kind:     global_buffer
      - .address_space:  global
        .offset:         56
        .size:           8
        .value_kind:     global_buffer
      - .address_space:  global
        .offset:         64
        .size:           8
        .value_kind:     global_buffer
      - .address_space:  global
        .offset:         72
        .size:           8
        .value_kind:     global_buffer
      - .offset:         80
        .size:           4
        .value_kind:     by_value
      - .address_space:  global
        .offset:         88
        .size:           8
        .value_kind:     global_buffer
      - .address_space:  global
        .offset:         96
        .size:           8
        .value_kind:     global_buffer
    .group_segment_fixed_size: 16320
    .kernarg_segment_align: 8
    .kernarg_segment_size: 104
    .language:       OpenCL C
    .language_version:
      - 2
      - 0
    .max_flat_workgroup_size: 255
    .name:           bluestein_single_back_len68_dim1_dp_op_CI_CI
    .private_segment_fixed_size: 284
    .sgpr_count:     60
    .sgpr_spill_count: 0
    .symbol:         bluestein_single_back_len68_dim1_dp_op_CI_CI.kd
    .uniform_work_group_size: 1
    .uses_dynamic_stack: false
    .vgpr_count:     256
    .vgpr_spill_count: 96
    .wavefront_size: 32
    .workgroup_processor_mode: 1
amdhsa.target:   amdgcn-amd-amdhsa--gfx1201
amdhsa.version:
  - 1
  - 2
...

	.end_amdgpu_metadata
